;; amdgpu-corpus repo=pytorch/pytorch kind=compiled arch=gfx1250 opt=O3
	.amdgcn_target "amdgcn-amd-amdhsa--gfx1250"
	.amdhsa_code_object_version 6
	.section	.text._ZN2at6native12_GLOBAL__N_135nll_loss2d_forward_no_reduce_kernelIdEEvlN5torch10headeronly6detail27GenericPackedTensorAccessorINS5_14TensorAccessorIN3c108ArrayRefIlEET_Lm3ENS4_16DefaultPtrTraitsElEENS_6detail16IndexBoundsCheckILm4ElEESB_Lm4ESC_lEENS6_INS7_ISA_lLm2ESC_lEENSF_ILm3ElEElLm3ESC_lEENS6_INS7_ISA_SB_Lm2ESC_lEESJ_SB_Lm3ESC_lEEPKSB_l,"axG",@progbits,_ZN2at6native12_GLOBAL__N_135nll_loss2d_forward_no_reduce_kernelIdEEvlN5torch10headeronly6detail27GenericPackedTensorAccessorINS5_14TensorAccessorIN3c108ArrayRefIlEET_Lm3ENS4_16DefaultPtrTraitsElEENS_6detail16IndexBoundsCheckILm4ElEESB_Lm4ESC_lEENS6_INS7_ISA_lLm2ESC_lEENSF_ILm3ElEElLm3ESC_lEENS6_INS7_ISA_SB_Lm2ESC_lEESJ_SB_Lm3ESC_lEEPKSB_l,comdat
	.globl	_ZN2at6native12_GLOBAL__N_135nll_loss2d_forward_no_reduce_kernelIdEEvlN5torch10headeronly6detail27GenericPackedTensorAccessorINS5_14TensorAccessorIN3c108ArrayRefIlEET_Lm3ENS4_16DefaultPtrTraitsElEENS_6detail16IndexBoundsCheckILm4ElEESB_Lm4ESC_lEENS6_INS7_ISA_lLm2ESC_lEENSF_ILm3ElEElLm3ESC_lEENS6_INS7_ISA_SB_Lm2ESC_lEESJ_SB_Lm3ESC_lEEPKSB_l ; -- Begin function _ZN2at6native12_GLOBAL__N_135nll_loss2d_forward_no_reduce_kernelIdEEvlN5torch10headeronly6detail27GenericPackedTensorAccessorINS5_14TensorAccessorIN3c108ArrayRefIlEET_Lm3ENS4_16DefaultPtrTraitsElEENS_6detail16IndexBoundsCheckILm4ElEESB_Lm4ESC_lEENS6_INS7_ISA_lLm2ESC_lEENSF_ILm3ElEElLm3ESC_lEENS6_INS7_ISA_SB_Lm2ESC_lEESJ_SB_Lm3ESC_lEEPKSB_l
	.p2align	8
	.type	_ZN2at6native12_GLOBAL__N_135nll_loss2d_forward_no_reduce_kernelIdEEvlN5torch10headeronly6detail27GenericPackedTensorAccessorINS5_14TensorAccessorIN3c108ArrayRefIlEET_Lm3ENS4_16DefaultPtrTraitsElEENS_6detail16IndexBoundsCheckILm4ElEESB_Lm4ESC_lEENS6_INS7_ISA_lLm2ESC_lEENSF_ILm3ElEElLm3ESC_lEENS6_INS7_ISA_SB_Lm2ESC_lEESJ_SB_Lm3ESC_lEEPKSB_l,@function
_ZN2at6native12_GLOBAL__N_135nll_loss2d_forward_no_reduce_kernelIdEEvlN5torch10headeronly6detail27GenericPackedTensorAccessorINS5_14TensorAccessorIN3c108ArrayRefIlEET_Lm3ENS4_16DefaultPtrTraitsElEENS_6detail16IndexBoundsCheckILm4ElEESB_Lm4ESC_lEENS6_INS7_ISA_lLm2ESC_lEENSF_ILm3ElEElLm3ESC_lEENS6_INS7_ISA_SB_Lm2ESC_lEESJ_SB_Lm3ESC_lEEPKSB_l: ; @_ZN2at6native12_GLOBAL__N_135nll_loss2d_forward_no_reduce_kernelIdEEvlN5torch10headeronly6detail27GenericPackedTensorAccessorINS5_14TensorAccessorIN3c108ArrayRefIlEET_Lm3ENS4_16DefaultPtrTraitsElEENS_6detail16IndexBoundsCheckILm4ElEESB_Lm4ESC_lEENS6_INS7_ISA_lLm2ESC_lEENSF_ILm3ElEElLm3ESC_lEENS6_INS7_ISA_SB_Lm2ESC_lEESJ_SB_Lm3ESC_lEEPKSB_l
; %bb.0:
	s_clause 0x1
	s_load_b32 s4, s[0:1], 0xdc
	s_load_b64 s[2:3], s[0:1], 0x0
	s_bfe_u32 s5, ttmp6, 0x4000c
	v_mov_b32_e32 v2, 0
	s_add_co_i32 s5, s5, 1
	s_and_b32 s6, ttmp6, 15
	s_mul_i32 s5, ttmp9, s5
	s_getreg_b32 s7, hwreg(HW_REG_IB_STS2, 6, 4)
	v_mov_b32_e32 v1, v2
	s_add_co_i32 s6, s6, s5
	s_mov_b32 s35, 0
	s_wait_kmcnt 0x0
	s_and_b32 s33, s4, 0xffff
	s_cmp_eq_u32 s7, 0
	s_cselect_b32 s4, ttmp9, s6
	s_delay_alu instid0(SALU_CYCLE_1) | instskip(SKIP_1) | instid1(VALU_DEP_1)
	v_mad_nc_u64_u32 v[0:1], s33, s4, v[0:1]
	s_mov_b32 s4, exec_lo
	v_cmpx_gt_i64_e64 s[2:3], v[0:1]
	s_cbranch_execz .LBB0_29
; %bb.1:
	s_clause 0x1
	s_load_b256 s[4:11], s[0:1], 0x10
	s_load_b128 s[28:31], s[0:1], 0xc0
	s_add_nc_u64 s[20:21], s[0:1], 0xd0
	s_load_b32 s34, s[20:21], 0x0
	s_clause 0x2
	s_load_b64 s[40:41], s[0:1], 0x8
	s_load_b256 s[12:19], s[0:1], 0x30
	s_load_b64 s[42:43], s[0:1], 0x50
	s_wait_xcnt 0x0
	s_clause 0x2
	s_load_b256 s[20:27], s[0:1], 0x70
	s_load_b64 s[44:45], s[0:1], 0xb8
	s_load_b128 s[36:39], s[0:1], 0xa8
	s_mov_b32 s47, s35
	s_mov_b32 s48, s35
	s_mov_b64 s[50:51], 0xffffffff
                                        ; implicit-def: $sgpr60
                                        ; implicit-def: $sgpr61
	s_wait_kmcnt 0x0
	v_cvt_f32_u32_e32 v3, s4
	s_cmp_lg_u64 s[28:29], 0
	s_mul_i32 s46, s34, s33
	s_mul_u64 s[52:53], s[8:9], s[4:5]
	s_cselect_b32 s1, -1, 0
	v_rcp_iflag_f32_e32 v4, v3
	v_nop
	v_mov_b32_e32 v3, v0
	s_mov_b32 s49, s46
	s_ashr_i32 s54, s5, 31
	s_mov_b32 s33, 0
	s_delay_alu instid0(TRANS32_DEP_1) | instskip(NEXT) | instid1(VALU_DEP_1)
	v_mul_f32_e32 v4, 0x4f7ffffe, v4
	v_cvt_u32_f32_e32 v16, v4
	v_mov_b64_e32 v[4:5], v[2:3]
	s_branch .LBB0_3
.LBB0_2:                                ;   in Loop: Header=BB0_3 Depth=1
	s_wait_xcnt 0x0
	s_or_b32 exec_lo, exec_lo, s0
	s_delay_alu instid0(SALU_CYCLE_1) | instskip(NEXT) | instid1(SALU_CYCLE_1)
	s_and_b32 s0, exec_lo, s34
	s_or_b32 s33, s0, s33
	s_and_not1_b32 s0, s60, exec_lo
	s_and_b32 s34, s61, exec_lo
	s_delay_alu instid0(SALU_CYCLE_1)
	s_or_b32 s60, s0, s34
	s_and_not1_b32 exec_lo, exec_lo, s33
	s_cbranch_execz .LBB0_28
.LBB0_3:                                ; =>This Inner Loop Header: Depth=1
	s_delay_alu instid0(VALU_DEP_1) | instskip(SKIP_1) | instid1(VALU_DEP_1)
	v_dual_mov_b32 v6, v5 :: v_dual_ashrrev_i32 v7, 31, v5
                                        ; implicit-def: $vgpr8_vgpr9
	s_mov_b32 s0, exec_lo
	v_dual_ashrrev_i32 v10, 31, v7 :: v_dual_bitop2_b32 v3, s5, v7 bitop3:0x54
	s_delay_alu instid0(VALU_DEP_1)
	v_cmpx_ne_u64_e32 0, v[2:3]
	s_xor_b32 s58, exec_lo, s0
	s_cbranch_execz .LBB0_5
; %bb.4:                                ;   in Loop: Header=BB0_3 Depth=1
	s_mov_b32 s55, s54
	v_dual_mov_b32 v11, v10 :: v_dual_mov_b32 v13, v2
	s_add_nc_u64 s[56:57], s[4:5], s[54:55]
	v_mov_b32_e32 v19, v2
	s_xor_b64 s[56:57], s[56:57], s[54:55]
	s_delay_alu instid0(VALU_DEP_2) | instskip(SKIP_4) | instid1(SALU_CYCLE_1)
	v_add_nc_u64_e32 v[8:9], v[6:7], v[10:11]
	s_cvt_f32_u32 s0, s56
	s_cvt_f32_u32 s34, s57
	s_sub_nc_u64 s[64:65], 0, s[56:57]
	v_mov_b32_e32 v23, v2
	s_fmamk_f32 s0, s34, 0x4f800000, s0
	s_delay_alu instid0(VALU_DEP_2) | instskip(SKIP_1) | instid1(SALU_CYCLE_1)
	v_xor_b32_e32 v12, v8, v10
	v_xor_b32_e32 v18, v9, v10
	v_s_rcp_f32 s0, s0
	s_delay_alu instid0(TRANS32_DEP_1) | instskip(NEXT) | instid1(SALU_CYCLE_3)
	s_mul_f32 s0, s0, 0x5f7ffffc
	s_mul_f32 s34, s0, 0x2f800000
	s_delay_alu instid0(SALU_CYCLE_3) | instskip(NEXT) | instid1(SALU_CYCLE_3)
	s_trunc_f32 s34, s34
	s_fmamk_f32 s0, s34, 0xcf800000, s0
	s_cvt_u32_f32 s63, s34
	s_delay_alu instid0(SALU_CYCLE_2) | instskip(NEXT) | instid1(SALU_CYCLE_3)
	s_cvt_u32_f32 s62, s0
	s_mul_u64 s[66:67], s[64:65], s[62:63]
	s_delay_alu instid0(SALU_CYCLE_1)
	s_mul_hi_u32 s69, s62, s67
	s_mul_i32 s68, s62, s67
	s_mul_hi_u32 s34, s62, s66
	s_mul_i32 s55, s63, s66
	s_add_nc_u64 s[68:69], s[34:35], s[68:69]
	s_mul_hi_u32 s0, s63, s66
	s_mul_hi_u32 s59, s63, s67
	s_add_co_u32 s34, s68, s55
	s_add_co_ci_u32 s34, s69, s0
	s_mul_i32 s66, s63, s67
	s_add_co_ci_u32 s67, s59, 0
	s_delay_alu instid0(SALU_CYCLE_1) | instskip(NEXT) | instid1(SALU_CYCLE_1)
	s_add_nc_u64 s[66:67], s[34:35], s[66:67]
	s_add_co_u32 s62, s62, s66
	s_cselect_b32 s0, -1, 0
	s_delay_alu instid0(SALU_CYCLE_1) | instskip(SKIP_1) | instid1(SALU_CYCLE_1)
	s_cmp_lg_u32 s0, 0
	s_add_co_ci_u32 s63, s63, s67
	s_mul_u64 s[64:65], s[64:65], s[62:63]
	s_delay_alu instid0(SALU_CYCLE_1)
	s_mul_hi_u32 s67, s62, s65
	s_mul_i32 s66, s62, s65
	s_mul_hi_u32 s34, s62, s64
	s_mul_i32 s55, s63, s64
	s_add_nc_u64 s[66:67], s[34:35], s[66:67]
	s_mul_hi_u32 s0, s63, s64
	s_mul_hi_u32 s59, s63, s65
	s_add_co_u32 s34, s66, s55
	s_add_co_ci_u32 s34, s67, s0
	s_mul_i32 s64, s63, s65
	s_add_co_ci_u32 s65, s59, 0
	s_delay_alu instid0(SALU_CYCLE_1) | instskip(NEXT) | instid1(SALU_CYCLE_1)
	s_add_nc_u64 s[64:65], s[34:35], s[64:65]
	s_add_co_u32 s0, s62, s64
	s_cselect_b32 s34, -1, 0
	v_nop
	v_mul_hi_u32 v22, v12, s0
	s_cmp_lg_u32 s34, 0
	s_add_co_ci_u32 s34, s63, s65
	s_and_b64 s[62:63], s[0:1], s[50:51]
	v_mul_u64_e32 v[14:15], s[34:35], v[12:13]
	v_mul_u64_e32 v[8:9], s[62:63], v[18:19]
	;; [unrolled: 1-line block ×3, first 2 shown]
	s_delay_alu instid0(VALU_DEP_3) | instskip(NEXT) | instid1(VALU_DEP_1)
	v_add_nc_u64_e32 v[14:15], v[22:23], v[14:15]
	v_add_co_u32 v3, vcc_lo, v14, v8
	s_delay_alu instid0(VALU_DEP_2) | instskip(NEXT) | instid1(VALU_DEP_4)
	v_add_co_ci_u32_e32 v22, vcc_lo, v15, v9, vcc_lo
	v_add_co_ci_u32_e32 v21, vcc_lo, 0, v21, vcc_lo
	s_delay_alu instid0(VALU_DEP_1) | instskip(NEXT) | instid1(VALU_DEP_1)
	v_add_nc_u64_e32 v[8:9], v[22:23], v[20:21]
	v_mul_u64_e32 v[14:15], s[56:57], v[8:9]
	s_delay_alu instid0(VALU_DEP_1) | instskip(NEXT) | instid1(VALU_DEP_2)
	v_sub_nc_u32_e32 v3, v18, v15
	v_sub_co_u32 v11, vcc_lo, v12, v14
	s_delay_alu instid0(VALU_DEP_1) | instskip(NEXT) | instid1(VALU_DEP_3)
	v_sub_co_ci_u32_e64 v17, null, v18, v15, vcc_lo
	v_subrev_co_ci_u32_e64 v3, null, s57, v3, vcc_lo
	s_delay_alu instid0(VALU_DEP_3) | instskip(SKIP_1) | instid1(VALU_DEP_3)
	v_sub_co_u32 v12, s0, v11, s56
	v_add_nc_u64_e32 v[14:15], 1, v[8:9]
	v_subrev_co_ci_u32_e64 v3, null, 0, v3, s0
	s_delay_alu instid0(VALU_DEP_3) | instskip(SKIP_1) | instid1(VALU_DEP_3)
	v_cmp_le_u32_e32 vcc_lo, s56, v12
	v_cndmask_b32_e64 v12, 0, -1, vcc_lo
	v_cmp_le_u32_e32 vcc_lo, s57, v3
	v_cndmask_b32_e64 v13, 0, -1, vcc_lo
	;; [unrolled: 2-line block ×4, first 2 shown]
	v_cmp_eq_u32_e32 vcc_lo, s57, v3
	v_cndmask_b32_e32 v3, v13, v12, vcc_lo
	v_cmp_eq_u32_e32 vcc_lo, s57, v17
	v_add_nc_u64_e32 v[12:13], 2, v[8:9]
	v_cndmask_b32_e32 v11, v18, v11, vcc_lo
	s_delay_alu instid0(VALU_DEP_4) | instskip(NEXT) | instid1(VALU_DEP_2)
	v_cmp_ne_u32_e32 vcc_lo, 0, v3
	v_cmp_ne_u32_e64 s0, 0, v11
	s_delay_alu instid0(VALU_DEP_4) | instskip(NEXT) | instid1(VALU_DEP_1)
	v_dual_cndmask_b32 v3, v15, v13, vcc_lo :: v_dual_cndmask_b32 v11, v14, v12, vcc_lo
	v_dual_cndmask_b32 v3, v9, v3, s0 :: v_dual_bitop2_b32 v12, s54, v10 bitop3:0x14
	s_delay_alu instid0(VALU_DEP_1) | instskip(NEXT) | instid1(VALU_DEP_2)
	v_mov_b32_e32 v13, v12
	v_dual_cndmask_b32 v8, v8, v11, s0 :: v_dual_bitop2_b32 v9, v3, v12 bitop3:0x14
	s_delay_alu instid0(VALU_DEP_1) | instskip(NEXT) | instid1(VALU_DEP_1)
	v_xor_b32_e32 v8, v8, v12
	v_sub_nc_u64_e32 v[8:9], v[8:9], v[12:13]
.LBB0_5:                                ;   in Loop: Header=BB0_3 Depth=1
	s_and_not1_saveexec_b32 s0, s58
	s_cbranch_execz .LBB0_7
; %bb.6:                                ;   in Loop: Header=BB0_3 Depth=1
	s_sub_co_i32 s34, 0, s4
	s_delay_alu instid0(SALU_CYCLE_1) | instskip(NEXT) | instid1(VALU_DEP_1)
	v_mul_lo_u32 v3, s34, v16
	v_mul_hi_u32 v3, v16, v3
	s_delay_alu instid0(VALU_DEP_1) | instskip(NEXT) | instid1(VALU_DEP_1)
	v_add_nc_u32_e32 v3, v16, v3
	v_mul_hi_u32 v3, v6, v3
	s_delay_alu instid0(VALU_DEP_1) | instskip(NEXT) | instid1(VALU_DEP_1)
	v_mul_lo_u32 v8, v3, s4
	v_dual_add_nc_u32 v9, 1, v3 :: v_dual_sub_nc_u32 v8, v6, v8
	s_delay_alu instid0(VALU_DEP_1) | instskip(SKIP_1) | instid1(VALU_DEP_2)
	v_subrev_nc_u32_e32 v11, s4, v8
	v_cmp_le_u32_e32 vcc_lo, s4, v8
	v_dual_cndmask_b32 v8, v8, v11 :: v_dual_cndmask_b32 v3, v3, v9
	s_delay_alu instid0(VALU_DEP_1) | instskip(NEXT) | instid1(VALU_DEP_2)
	v_cmp_le_u32_e32 vcc_lo, s4, v8
	v_add_nc_u32_e32 v9, 1, v3
	s_delay_alu instid0(VALU_DEP_1)
	v_dual_cndmask_b32 v8, v3, v9 :: v_dual_mov_b32 v9, v2
.LBB0_7:                                ;   in Loop: Header=BB0_3 Depth=1
	s_or_b32 exec_lo, exec_lo, s0
	s_delay_alu instid0(VALU_DEP_1) | instskip(SKIP_1) | instid1(VALU_DEP_1)
	v_or_b32_e32 v3, s9, v9
                                        ; implicit-def: $vgpr12_vgpr13
	s_mov_b32 s0, exec_lo
	v_cmpx_ne_u64_e32 0, v[2:3]
	s_xor_b32 s55, exec_lo, s0
	s_cbranch_execz .LBB0_9
; %bb.8:                                ;   in Loop: Header=BB0_3 Depth=1
	s_ashr_i32 s56, s9, 31
	v_dual_mov_b32 v19, v2 :: v_dual_ashrrev_i32 v12, 31, v9
	s_mov_b32 s57, s56
	v_mov_b32_e32 v27, v2
	s_add_nc_u64 s[58:59], s[8:9], s[56:57]
	s_delay_alu instid0(VALU_DEP_2) | instskip(SKIP_1) | instid1(SALU_CYCLE_1)
	v_mov_b32_e32 v13, v12
	s_xor_b64 s[56:57], s[58:59], s[56:57]
	s_cvt_f32_u32 s0, s56
	s_cvt_f32_u32 s34, s57
	s_sub_nc_u64 s[62:63], 0, s[56:57]
	v_add_nc_u64_e32 v[14:15], v[8:9], v[12:13]
	v_mov_b32_e32 v23, v2
	s_fmamk_f32 s0, s34, 0x4f800000, s0
	s_delay_alu instid0(SALU_CYCLE_3) | instskip(NEXT) | instid1(VALU_DEP_2)
	v_s_rcp_f32 s0, s0
	v_xor_b32_e32 v18, v14, v12
	s_delay_alu instid0(VALU_DEP_3) | instskip(NEXT) | instid1(TRANS32_DEP_1)
	v_xor_b32_e32 v22, v15, v12
	s_mul_f32 s0, s0, 0x5f7ffffc
	s_delay_alu instid0(SALU_CYCLE_3) | instskip(NEXT) | instid1(SALU_CYCLE_3)
	s_mul_f32 s34, s0, 0x2f800000
	s_trunc_f32 s34, s34
	s_delay_alu instid0(SALU_CYCLE_3) | instskip(SKIP_1) | instid1(SALU_CYCLE_2)
	s_fmamk_f32 s0, s34, 0xcf800000, s0
	s_cvt_u32_f32 s59, s34
	s_cvt_u32_f32 s58, s0
	s_delay_alu instid0(SALU_CYCLE_3) | instskip(NEXT) | instid1(SALU_CYCLE_1)
	s_mul_u64 s[64:65], s[62:63], s[58:59]
	s_mul_hi_u32 s67, s58, s65
	s_mul_i32 s66, s58, s65
	s_mul_hi_u32 s34, s58, s64
	s_mul_i32 s68, s59, s64
	s_add_nc_u64 s[66:67], s[34:35], s[66:67]
	s_mul_hi_u32 s0, s59, s64
	s_mul_hi_u32 s69, s59, s65
	s_add_co_u32 s34, s66, s68
	s_add_co_ci_u32 s34, s67, s0
	s_mul_i32 s64, s59, s65
	s_add_co_ci_u32 s65, s69, 0
	s_delay_alu instid0(SALU_CYCLE_1) | instskip(NEXT) | instid1(SALU_CYCLE_1)
	s_add_nc_u64 s[64:65], s[34:35], s[64:65]
	s_add_co_u32 s58, s58, s64
	s_cselect_b32 s0, -1, 0
	s_delay_alu instid0(SALU_CYCLE_1) | instskip(SKIP_1) | instid1(SALU_CYCLE_1)
	s_cmp_lg_u32 s0, 0
	s_add_co_ci_u32 s59, s59, s65
	s_mul_u64 s[62:63], s[62:63], s[58:59]
	s_delay_alu instid0(SALU_CYCLE_1)
	s_mul_hi_u32 s65, s58, s63
	s_mul_i32 s64, s58, s63
	s_mul_hi_u32 s34, s58, s62
	s_mul_i32 s66, s59, s62
	s_add_nc_u64 s[64:65], s[34:35], s[64:65]
	s_mul_hi_u32 s0, s59, s62
	s_mul_hi_u32 s67, s59, s63
	s_add_co_u32 s34, s64, s66
	s_add_co_ci_u32 s34, s65, s0
	s_mul_i32 s62, s59, s63
	s_add_co_ci_u32 s63, s67, 0
	s_delay_alu instid0(SALU_CYCLE_1) | instskip(NEXT) | instid1(SALU_CYCLE_1)
	s_add_nc_u64 s[62:63], s[34:35], s[62:63]
	s_add_co_u32 s0, s58, s62
	s_cselect_b32 s34, -1, 0
	v_mul_hi_u32 v26, v18, s0
	s_cmp_lg_u32 s34, 0
	s_add_co_ci_u32 s34, s59, s63
	s_and_b64 s[58:59], s[0:1], s[50:51]
	v_mul_u64_e32 v[20:21], s[34:35], v[18:19]
	v_mul_u64_e32 v[14:15], s[58:59], v[22:23]
	v_mul_u64_e32 v[24:25], s[34:35], v[22:23]
	s_delay_alu instid0(VALU_DEP_3) | instskip(NEXT) | instid1(VALU_DEP_1)
	v_add_nc_u64_e32 v[20:21], v[26:27], v[20:21]
	v_add_co_u32 v3, vcc_lo, v20, v14
	s_delay_alu instid0(VALU_DEP_2) | instskip(NEXT) | instid1(VALU_DEP_4)
	v_add_co_ci_u32_e32 v26, vcc_lo, v21, v15, vcc_lo
	v_add_co_ci_u32_e32 v25, vcc_lo, 0, v25, vcc_lo
	s_delay_alu instid0(VALU_DEP_1) | instskip(NEXT) | instid1(VALU_DEP_1)
	v_add_nc_u64_e32 v[14:15], v[26:27], v[24:25]
	v_mul_u64_e32 v[14:15], s[56:57], v[14:15]
	s_delay_alu instid0(VALU_DEP_1) | instskip(NEXT) | instid1(VALU_DEP_1)
	v_sub_co_u32 v11, vcc_lo, v18, v14
	v_sub_co_ci_u32_e64 v14, null, v22, v15, vcc_lo
	s_delay_alu instid0(VALU_DEP_2) | instskip(NEXT) | instid1(VALU_DEP_1)
	v_cmp_le_u32_e64 s0, s56, v11
	v_cndmask_b32_e64 v18, 0, -1, s0
	v_sub_nc_u32_e32 v3, v22, v15
	s_delay_alu instid0(VALU_DEP_1) | instskip(SKIP_1) | instid1(VALU_DEP_1)
	v_subrev_co_ci_u32_e64 v3, null, s57, v3, vcc_lo
	v_sub_co_u32 v15, vcc_lo, v11, s56
	v_subrev_co_ci_u32_e64 v17, null, 0, v3, vcc_lo
	s_delay_alu instid0(VALU_DEP_2) | instskip(SKIP_2) | instid1(VALU_DEP_3)
	v_cmp_le_u32_e64 s0, s56, v15
	v_subrev_co_ci_u32_e64 v3, null, s57, v3, vcc_lo
	v_cmp_le_u32_e32 vcc_lo, s57, v14
	v_cndmask_b32_e64 v19, 0, -1, s0
	v_cmp_le_u32_e64 s0, s57, v17
	v_cndmask_b32_e64 v21, 0, -1, vcc_lo
	v_cmp_eq_u32_e32 vcc_lo, s57, v17
	s_delay_alu instid0(VALU_DEP_3) | instskip(SKIP_1) | instid1(VALU_DEP_2)
	v_cndmask_b32_e64 v20, 0, -1, s0
	v_cmp_eq_u32_e64 s0, s57, v14
	v_cndmask_b32_e32 v19, v20, v19, vcc_lo
	v_sub_co_u32 v20, vcc_lo, v15, s56
	s_delay_alu instid0(VALU_DEP_1) | instskip(NEXT) | instid1(VALU_DEP_3)
	v_subrev_co_ci_u32_e64 v3, null, 0, v3, vcc_lo
	v_cmp_ne_u32_e32 vcc_lo, 0, v19
	v_cndmask_b32_e64 v18, v21, v18, s0
	s_delay_alu instid0(VALU_DEP_3) | instskip(NEXT) | instid1(VALU_DEP_2)
	v_dual_cndmask_b32 v3, v17, v3, vcc_lo :: v_dual_cndmask_b32 v15, v15, v20, vcc_lo
	v_cmp_ne_u32_e32 vcc_lo, 0, v18
	s_delay_alu instid0(VALU_DEP_2) | instskip(NEXT) | instid1(VALU_DEP_1)
	v_cndmask_b32_e32 v11, v11, v15, vcc_lo
	v_dual_cndmask_b32 v3, v14, v3, vcc_lo :: v_dual_bitop2_b32 v14, v11, v12 bitop3:0x14
	s_delay_alu instid0(VALU_DEP_1) | instskip(NEXT) | instid1(VALU_DEP_1)
	v_xor_b32_e32 v15, v3, v12
	v_sub_nc_u64_e32 v[12:13], v[14:15], v[12:13]
.LBB0_9:                                ;   in Loop: Header=BB0_3 Depth=1
	s_and_not1_saveexec_b32 s0, s55
	s_cbranch_execz .LBB0_11
; %bb.10:                               ;   in Loop: Header=BB0_3 Depth=1
	v_cvt_f32_u32_e32 v3, s8
	s_sub_co_i32 s34, 0, s8
	v_mov_b32_e32 v13, v2
	s_delay_alu instid0(VALU_DEP_2) | instskip(SKIP_1) | instid1(TRANS32_DEP_1)
	v_rcp_iflag_f32_e32 v3, v3
	v_nop
	v_mul_f32_e32 v3, 0x4f7ffffe, v3
	s_delay_alu instid0(VALU_DEP_1) | instskip(NEXT) | instid1(VALU_DEP_1)
	v_cvt_u32_f32_e32 v3, v3
	v_mul_lo_u32 v11, s34, v3
	s_delay_alu instid0(VALU_DEP_1) | instskip(NEXT) | instid1(VALU_DEP_1)
	v_mul_hi_u32 v11, v3, v11
	v_add_nc_u32_e32 v3, v3, v11
	s_delay_alu instid0(VALU_DEP_1) | instskip(NEXT) | instid1(VALU_DEP_1)
	v_mul_hi_u32 v3, v8, v3
	v_mul_lo_u32 v3, v3, s8
	s_delay_alu instid0(VALU_DEP_1) | instskip(NEXT) | instid1(VALU_DEP_1)
	v_sub_nc_u32_e32 v3, v8, v3
	v_subrev_nc_u32_e32 v11, s8, v3
	v_cmp_le_u32_e32 vcc_lo, s8, v3
	s_delay_alu instid0(VALU_DEP_2) | instskip(NEXT) | instid1(VALU_DEP_1)
	v_cndmask_b32_e32 v3, v3, v11, vcc_lo
	v_subrev_nc_u32_e32 v11, s8, v3
	v_cmp_le_u32_e32 vcc_lo, s8, v3
	s_delay_alu instid0(VALU_DEP_2)
	v_cndmask_b32_e32 v12, v3, v11, vcc_lo
.LBB0_11:                               ;   in Loop: Header=BB0_3 Depth=1
	s_or_b32 exec_lo, exec_lo, s0
	v_or_b32_e32 v3, s53, v7
                                        ; implicit-def: $vgpr14_vgpr15
	s_mov_b32 s0, exec_lo
	s_delay_alu instid0(VALU_DEP_1)
	v_cmpx_ne_u64_e32 0, v[2:3]
	s_xor_b32 s55, exec_lo, s0
	s_cbranch_execz .LBB0_13
; %bb.12:                               ;   in Loop: Header=BB0_3 Depth=1
	s_ashr_i32 s56, s53, 31
	v_dual_mov_b32 v11, v10 :: v_dual_mov_b32 v19, v2
	s_mov_b32 s57, s56
	v_mov_b32_e32 v27, v2
	s_add_nc_u64 s[58:59], s[52:53], s[56:57]
	s_delay_alu instid0(VALU_DEP_2)
	v_add_nc_u64_e32 v[14:15], v[6:7], v[10:11]
	s_xor_b64 s[58:59], s[58:59], s[56:57]
	v_mov_b32_e32 v23, v2
	s_cvt_f32_u32 s0, s58
	s_cvt_f32_u32 s34, s59
	s_sub_nc_u64 s[64:65], 0, s[58:59]
	s_delay_alu instid0(VALU_DEP_2) | instskip(NEXT) | instid1(SALU_CYCLE_1)
	v_xor_b32_e32 v18, v14, v10
	s_fmamk_f32 s0, s34, 0x4f800000, s0
	v_xor_b32_e32 v22, v15, v10
	v_xor_b32_e32 v10, s56, v10
	s_delay_alu instid0(SALU_CYCLE_1) | instskip(NEXT) | instid1(TRANS32_DEP_1)
	v_s_rcp_f32 s0, s0
	s_mul_f32 s0, s0, 0x5f7ffffc
	s_delay_alu instid0(SALU_CYCLE_3) | instskip(NEXT) | instid1(SALU_CYCLE_3)
	s_mul_f32 s34, s0, 0x2f800000
	s_trunc_f32 s34, s34
	s_delay_alu instid0(SALU_CYCLE_3) | instskip(SKIP_1) | instid1(SALU_CYCLE_2)
	s_fmamk_f32 s0, s34, 0xcf800000, s0
	s_cvt_u32_f32 s63, s34
	s_cvt_u32_f32 s62, s0
	s_delay_alu instid0(SALU_CYCLE_3) | instskip(NEXT) | instid1(SALU_CYCLE_1)
	s_mul_u64 s[66:67], s[64:65], s[62:63]
	s_mul_hi_u32 s69, s62, s67
	s_mul_i32 s68, s62, s67
	s_mul_hi_u32 s34, s62, s66
	s_mul_i32 s57, s63, s66
	s_add_nc_u64 s[68:69], s[34:35], s[68:69]
	s_mul_hi_u32 s0, s63, s66
	s_mul_hi_u32 s70, s63, s67
	s_add_co_u32 s34, s68, s57
	s_add_co_ci_u32 s34, s69, s0
	s_mul_i32 s66, s63, s67
	s_add_co_ci_u32 s67, s70, 0
	s_delay_alu instid0(SALU_CYCLE_1) | instskip(NEXT) | instid1(SALU_CYCLE_1)
	s_add_nc_u64 s[66:67], s[34:35], s[66:67]
	s_add_co_u32 s62, s62, s66
	s_cselect_b32 s0, -1, 0
	s_delay_alu instid0(SALU_CYCLE_1) | instskip(SKIP_1) | instid1(SALU_CYCLE_1)
	s_cmp_lg_u32 s0, 0
	s_add_co_ci_u32 s63, s63, s67
	s_mul_u64 s[64:65], s[64:65], s[62:63]
	s_delay_alu instid0(SALU_CYCLE_1)
	s_mul_hi_u32 s67, s62, s65
	s_mul_i32 s66, s62, s65
	s_mul_hi_u32 s34, s62, s64
	s_mul_i32 s57, s63, s64
	s_add_nc_u64 s[66:67], s[34:35], s[66:67]
	s_mul_hi_u32 s0, s63, s64
	s_mul_hi_u32 s68, s63, s65
	s_add_co_u32 s34, s66, s57
	s_add_co_ci_u32 s34, s67, s0
	s_mul_i32 s64, s63, s65
	s_add_co_ci_u32 s65, s68, 0
	s_delay_alu instid0(SALU_CYCLE_1) | instskip(NEXT) | instid1(SALU_CYCLE_1)
	s_add_nc_u64 s[64:65], s[34:35], s[64:65]
	s_add_co_u32 s0, s62, s64
	s_cselect_b32 s34, -1, 0
	v_nop
	v_mul_hi_u32 v26, v18, s0
	s_cmp_lg_u32 s34, 0
	s_add_co_ci_u32 s34, s63, s65
	s_and_b64 s[62:63], s[0:1], s[50:51]
	v_mul_u64_e32 v[20:21], s[34:35], v[18:19]
	v_mul_u64_e32 v[14:15], s[62:63], v[22:23]
	;; [unrolled: 1-line block ×3, first 2 shown]
	s_delay_alu instid0(VALU_DEP_3) | instskip(NEXT) | instid1(VALU_DEP_1)
	v_add_nc_u64_e32 v[20:21], v[26:27], v[20:21]
	v_add_co_u32 v3, vcc_lo, v20, v14
	s_delay_alu instid0(VALU_DEP_2) | instskip(NEXT) | instid1(VALU_DEP_4)
	v_add_co_ci_u32_e32 v26, vcc_lo, v21, v15, vcc_lo
	v_add_co_ci_u32_e32 v25, vcc_lo, 0, v25, vcc_lo
	s_delay_alu instid0(VALU_DEP_1) | instskip(NEXT) | instid1(VALU_DEP_1)
	v_add_nc_u64_e32 v[14:15], v[26:27], v[24:25]
	v_mul_u64_e32 v[20:21], s[58:59], v[14:15]
	s_delay_alu instid0(VALU_DEP_1) | instskip(NEXT) | instid1(VALU_DEP_2)
	v_sub_nc_u32_e32 v3, v22, v21
	v_sub_co_u32 v11, vcc_lo, v18, v20
	s_delay_alu instid0(VALU_DEP_1) | instskip(NEXT) | instid1(VALU_DEP_3)
	v_sub_co_ci_u32_e64 v22, null, v22, v21, vcc_lo
	v_subrev_co_ci_u32_e64 v3, null, s59, v3, vcc_lo
	s_delay_alu instid0(VALU_DEP_3) | instskip(SKIP_1) | instid1(VALU_DEP_3)
	v_sub_co_u32 v17, s0, v11, s58
	v_add_nc_u64_e32 v[20:21], 1, v[14:15]
	v_subrev_co_ci_u32_e64 v3, null, 0, v3, s0
	s_delay_alu instid0(VALU_DEP_3) | instskip(SKIP_1) | instid1(VALU_DEP_3)
	v_cmp_le_u32_e32 vcc_lo, s58, v17
	v_cndmask_b32_e64 v17, 0, -1, vcc_lo
	v_cmp_le_u32_e32 vcc_lo, s59, v3
	v_cndmask_b32_e64 v18, 0, -1, vcc_lo
	;; [unrolled: 2-line block ×4, first 2 shown]
	v_cmp_eq_u32_e32 vcc_lo, s59, v3
	v_cndmask_b32_e32 v3, v18, v17, vcc_lo
	v_cmp_eq_u32_e32 vcc_lo, s59, v22
	v_add_nc_u64_e32 v[18:19], 2, v[14:15]
	v_cndmask_b32_e32 v11, v23, v11, vcc_lo
	s_delay_alu instid0(VALU_DEP_4) | instskip(NEXT) | instid1(VALU_DEP_2)
	v_cmp_ne_u32_e32 vcc_lo, 0, v3
	v_cmp_ne_u32_e64 s0, 0, v11
	s_delay_alu instid0(VALU_DEP_4) | instskip(NEXT) | instid1(VALU_DEP_1)
	v_dual_cndmask_b32 v3, v21, v19, vcc_lo :: v_dual_cndmask_b32 v11, v20, v18, vcc_lo
	v_cndmask_b32_e64 v3, v15, v3, s0
	s_delay_alu instid0(VALU_DEP_2) | instskip(NEXT) | instid1(VALU_DEP_2)
	v_cndmask_b32_e64 v14, v14, v11, s0
	v_dual_mov_b32 v11, v10 :: v_dual_bitop2_b32 v15, v3, v10 bitop3:0x14
	s_delay_alu instid0(VALU_DEP_2) | instskip(NEXT) | instid1(VALU_DEP_1)
	v_xor_b32_e32 v14, v14, v10
	v_sub_nc_u64_e32 v[14:15], v[14:15], v[10:11]
.LBB0_13:                               ;   in Loop: Header=BB0_3 Depth=1
	s_and_not1_saveexec_b32 s0, s55
	s_cbranch_execz .LBB0_15
; %bb.14:                               ;   in Loop: Header=BB0_3 Depth=1
	v_cvt_f32_u32_e32 v3, s52
	s_sub_co_i32 s34, 0, s52
	v_mov_b32_e32 v15, v2
	s_delay_alu instid0(VALU_DEP_2) | instskip(SKIP_1) | instid1(TRANS32_DEP_1)
	v_rcp_iflag_f32_e32 v3, v3
	v_nop
	v_mul_f32_e32 v3, 0x4f7ffffe, v3
	s_delay_alu instid0(VALU_DEP_1) | instskip(NEXT) | instid1(VALU_DEP_1)
	v_cvt_u32_f32_e32 v3, v3
	v_mul_lo_u32 v10, s34, v3
	s_delay_alu instid0(VALU_DEP_1) | instskip(NEXT) | instid1(VALU_DEP_1)
	v_mul_hi_u32 v10, v3, v10
	v_add_nc_u32_e32 v3, v3, v10
	s_delay_alu instid0(VALU_DEP_1) | instskip(NEXT) | instid1(VALU_DEP_1)
	v_mul_hi_u32 v3, v5, v3
	v_mul_lo_u32 v10, v3, s52
	s_delay_alu instid0(VALU_DEP_1) | instskip(NEXT) | instid1(VALU_DEP_1)
	v_sub_nc_u32_e32 v10, v5, v10
	v_subrev_nc_u32_e32 v14, s52, v10
	v_cmp_le_u32_e32 vcc_lo, s52, v10
	s_delay_alu instid0(VALU_DEP_2) | instskip(NEXT) | instid1(VALU_DEP_1)
	v_dual_cndmask_b32 v10, v10, v14 :: v_dual_add_nc_u32 v11, 1, v3
	v_cndmask_b32_e32 v3, v3, v11, vcc_lo
	s_delay_alu instid0(VALU_DEP_2) | instskip(NEXT) | instid1(VALU_DEP_2)
	v_cmp_le_u32_e32 vcc_lo, s52, v10
	v_add_nc_u32_e32 v11, 1, v3
	s_delay_alu instid0(VALU_DEP_1)
	v_cndmask_b32_e32 v14, v3, v11, vcc_lo
.LBB0_15:                               ;   in Loop: Header=BB0_3 Depth=1
	s_or_b32 exec_lo, exec_lo, s0
	s_delay_alu instid0(VALU_DEP_1) | instskip(SKIP_1) | instid1(VALU_DEP_1)
	v_or_b32_e32 v3, s11, v15
                                        ; implicit-def: $vgpr10_vgpr11
	s_mov_b32 s0, exec_lo
	v_cmpx_ne_u64_e32 0, v[2:3]
	s_xor_b32 s55, exec_lo, s0
	s_cbranch_execz .LBB0_17
; %bb.16:                               ;   in Loop: Header=BB0_3 Depth=1
	s_ashr_i32 s56, s11, 31
	v_dual_mov_b32 v19, v2 :: v_dual_ashrrev_i32 v10, 31, v15
	s_mov_b32 s57, s56
	v_mov_b32_e32 v23, v2
	s_add_nc_u64 s[58:59], s[10:11], s[56:57]
	s_delay_alu instid0(VALU_DEP_2)
	v_mov_b32_e32 v11, v10
	s_xor_b64 s[56:57], s[58:59], s[56:57]
	v_mov_b32_e32 v27, v2
	s_cvt_f32_u32 s0, s56
	s_cvt_f32_u32 s34, s57
	s_sub_nc_u64 s[62:63], 0, s[56:57]
	v_add_nc_u64_e32 v[14:15], v[14:15], v[10:11]
	s_delay_alu instid0(SALU_CYCLE_1) | instskip(NEXT) | instid1(SALU_CYCLE_3)
	s_fmamk_f32 s0, s34, 0x4f800000, s0
	v_s_rcp_f32 s0, s0
	s_delay_alu instid0(VALU_DEP_1) | instskip(NEXT) | instid1(VALU_DEP_2)
	v_xor_b32_e32 v18, v14, v10
	v_xor_b32_e32 v22, v15, v10
	s_delay_alu instid0(TRANS32_DEP_1) | instskip(NEXT) | instid1(SALU_CYCLE_3)
	s_mul_f32 s0, s0, 0x5f7ffffc
	s_mul_f32 s34, s0, 0x2f800000
	s_delay_alu instid0(SALU_CYCLE_3) | instskip(NEXT) | instid1(SALU_CYCLE_3)
	s_trunc_f32 s34, s34
	s_fmamk_f32 s0, s34, 0xcf800000, s0
	s_cvt_u32_f32 s59, s34
	s_delay_alu instid0(SALU_CYCLE_2) | instskip(NEXT) | instid1(SALU_CYCLE_3)
	s_cvt_u32_f32 s58, s0
	s_mul_u64 s[64:65], s[62:63], s[58:59]
	s_delay_alu instid0(SALU_CYCLE_1)
	s_mul_hi_u32 s67, s58, s65
	s_mul_i32 s66, s58, s65
	s_mul_hi_u32 s34, s58, s64
	s_mul_i32 s68, s59, s64
	s_add_nc_u64 s[66:67], s[34:35], s[66:67]
	s_mul_hi_u32 s0, s59, s64
	s_mul_hi_u32 s69, s59, s65
	s_add_co_u32 s34, s66, s68
	s_add_co_ci_u32 s34, s67, s0
	s_mul_i32 s64, s59, s65
	s_add_co_ci_u32 s65, s69, 0
	s_delay_alu instid0(SALU_CYCLE_1) | instskip(NEXT) | instid1(SALU_CYCLE_1)
	s_add_nc_u64 s[64:65], s[34:35], s[64:65]
	s_add_co_u32 s58, s58, s64
	s_cselect_b32 s0, -1, 0
	s_delay_alu instid0(SALU_CYCLE_1) | instskip(SKIP_1) | instid1(SALU_CYCLE_1)
	s_cmp_lg_u32 s0, 0
	s_add_co_ci_u32 s59, s59, s65
	s_mul_u64 s[62:63], s[62:63], s[58:59]
	s_delay_alu instid0(SALU_CYCLE_1)
	s_mul_hi_u32 s65, s58, s63
	s_mul_i32 s64, s58, s63
	s_mul_hi_u32 s34, s58, s62
	s_mul_i32 s66, s59, s62
	s_add_nc_u64 s[64:65], s[34:35], s[64:65]
	s_mul_hi_u32 s0, s59, s62
	s_mul_hi_u32 s67, s59, s63
	s_add_co_u32 s34, s64, s66
	s_add_co_ci_u32 s34, s65, s0
	s_mul_i32 s62, s59, s63
	s_add_co_ci_u32 s63, s67, 0
	s_delay_alu instid0(SALU_CYCLE_1) | instskip(NEXT) | instid1(SALU_CYCLE_1)
	s_add_nc_u64 s[62:63], s[34:35], s[62:63]
	s_add_co_u32 s0, s58, s62
	s_cselect_b32 s34, -1, 0
	v_mul_hi_u32 v26, v18, s0
	s_cmp_lg_u32 s34, 0
	s_add_co_ci_u32 s34, s59, s63
	s_and_b64 s[58:59], s[0:1], s[50:51]
	v_mul_u64_e32 v[20:21], s[34:35], v[18:19]
	v_mul_u64_e32 v[14:15], s[58:59], v[22:23]
	;; [unrolled: 1-line block ×3, first 2 shown]
	s_delay_alu instid0(VALU_DEP_3) | instskip(NEXT) | instid1(VALU_DEP_1)
	v_add_nc_u64_e32 v[20:21], v[26:27], v[20:21]
	v_add_co_u32 v3, vcc_lo, v20, v14
	s_delay_alu instid0(VALU_DEP_2) | instskip(NEXT) | instid1(VALU_DEP_4)
	v_add_co_ci_u32_e32 v26, vcc_lo, v21, v15, vcc_lo
	v_add_co_ci_u32_e32 v25, vcc_lo, 0, v25, vcc_lo
	s_delay_alu instid0(VALU_DEP_1) | instskip(NEXT) | instid1(VALU_DEP_1)
	v_add_nc_u64_e32 v[14:15], v[26:27], v[24:25]
	v_mul_u64_e32 v[14:15], s[56:57], v[14:15]
	s_delay_alu instid0(VALU_DEP_1) | instskip(NEXT) | instid1(VALU_DEP_2)
	v_sub_nc_u32_e32 v3, v22, v15
	v_sub_co_u32 v14, vcc_lo, v18, v14
	s_delay_alu instid0(VALU_DEP_1) | instskip(NEXT) | instid1(VALU_DEP_3)
	v_sub_co_ci_u32_e64 v15, null, v22, v15, vcc_lo
	v_subrev_co_ci_u32_e64 v3, null, s57, v3, vcc_lo
	s_delay_alu instid0(VALU_DEP_3) | instskip(SKIP_1) | instid1(VALU_DEP_3)
	v_sub_co_u32 v17, vcc_lo, v14, s56
	v_cmp_le_u32_e64 s0, s56, v14
	v_subrev_co_ci_u32_e64 v18, null, 0, v3, vcc_lo
	v_subrev_co_ci_u32_e64 v3, null, s57, v3, vcc_lo
	s_delay_alu instid0(VALU_DEP_3) | instskip(SKIP_2) | instid1(VALU_DEP_2)
	v_cndmask_b32_e64 v19, 0, -1, s0
	v_cmp_le_u32_e64 s0, s56, v17
	v_cmp_le_u32_e32 vcc_lo, s57, v15
	v_cndmask_b32_e64 v20, 0, -1, s0
	v_cmp_le_u32_e64 s0, s57, v18
	v_cndmask_b32_e64 v22, 0, -1, vcc_lo
	v_cmp_eq_u32_e32 vcc_lo, s57, v18
	s_delay_alu instid0(VALU_DEP_3) | instskip(SKIP_1) | instid1(VALU_DEP_2)
	v_cndmask_b32_e64 v21, 0, -1, s0
	v_cmp_eq_u32_e64 s0, s57, v15
	v_cndmask_b32_e32 v20, v21, v20, vcc_lo
	v_sub_co_u32 v21, vcc_lo, v17, s56
	s_delay_alu instid0(VALU_DEP_1) | instskip(NEXT) | instid1(VALU_DEP_3)
	v_subrev_co_ci_u32_e64 v3, null, 0, v3, vcc_lo
	v_cmp_ne_u32_e32 vcc_lo, 0, v20
	v_cndmask_b32_e64 v19, v22, v19, s0
	s_delay_alu instid0(VALU_DEP_3) | instskip(NEXT) | instid1(VALU_DEP_2)
	v_dual_cndmask_b32 v3, v18, v3, vcc_lo :: v_dual_cndmask_b32 v17, v17, v21, vcc_lo
	v_cmp_ne_u32_e32 vcc_lo, 0, v19
	s_delay_alu instid0(VALU_DEP_2) | instskip(NEXT) | instid1(VALU_DEP_1)
	v_dual_cndmask_b32 v3, v15, v3 :: v_dual_cndmask_b32 v14, v14, v17
	v_xor_b32_e32 v15, v3, v10
	s_delay_alu instid0(VALU_DEP_2) | instskip(NEXT) | instid1(VALU_DEP_1)
	v_xor_b32_e32 v14, v14, v10
	v_sub_nc_u64_e32 v[10:11], v[14:15], v[10:11]
                                        ; implicit-def: $vgpr14_vgpr15
.LBB0_17:                               ;   in Loop: Header=BB0_3 Depth=1
	s_and_not1_saveexec_b32 s0, s55
	s_cbranch_execz .LBB0_19
; %bb.18:                               ;   in Loop: Header=BB0_3 Depth=1
	v_cvt_f32_u32_e32 v3, s10
	s_sub_co_i32 s34, 0, s10
	v_mov_b32_e32 v11, v2
	s_delay_alu instid0(VALU_DEP_2) | instskip(SKIP_1) | instid1(TRANS32_DEP_1)
	v_rcp_iflag_f32_e32 v3, v3
	v_nop
	v_mul_f32_e32 v3, 0x4f7ffffe, v3
	s_delay_alu instid0(VALU_DEP_1) | instskip(NEXT) | instid1(VALU_DEP_1)
	v_cvt_u32_f32_e32 v3, v3
	v_mul_lo_u32 v10, s34, v3
	s_delay_alu instid0(VALU_DEP_1) | instskip(NEXT) | instid1(VALU_DEP_1)
	v_mul_hi_u32 v10, v3, v10
	v_add_nc_u32_e32 v3, v3, v10
	s_delay_alu instid0(VALU_DEP_1) | instskip(NEXT) | instid1(VALU_DEP_1)
	v_mul_hi_u32 v3, v14, v3
	v_mul_lo_u32 v3, v3, s10
	s_delay_alu instid0(VALU_DEP_1) | instskip(NEXT) | instid1(VALU_DEP_1)
	v_sub_nc_u32_e32 v3, v14, v3
	v_subrev_nc_u32_e32 v10, s10, v3
	v_cmp_le_u32_e32 vcc_lo, s10, v3
	s_delay_alu instid0(VALU_DEP_2) | instskip(NEXT) | instid1(VALU_DEP_1)
	v_cndmask_b32_e32 v3, v3, v10, vcc_lo
	v_subrev_nc_u32_e32 v10, s10, v3
	v_cmp_le_u32_e32 vcc_lo, s10, v3
	s_delay_alu instid0(VALU_DEP_2)
	v_cndmask_b32_e32 v10, v3, v10, vcc_lo
.LBB0_19:                               ;   in Loop: Header=BB0_3 Depth=1
	s_or_b32 exec_lo, exec_lo, s0
	v_mul_u64_e32 v[8:9], s[4:5], v[8:9]
	v_mul_u64_e32 v[14:15], s[22:23], v[12:13]
	s_delay_alu instid0(VALU_DEP_3) | instskip(SKIP_3) | instid1(VALU_DEP_3)
	v_mul_u64_e32 v[18:19], s[24:25], v[10:11]
	s_mov_b32 s34, -1
	s_mov_b32 s56, -1
	s_mov_b32 s55, exec_lo
	v_sub_nc_u64_e32 v[6:7], v[6:7], v[8:9]
	s_delay_alu instid0(VALU_DEP_1) | instskip(NEXT) | instid1(VALU_DEP_1)
	v_mul_u64_e32 v[8:9], s[20:21], v[6:7]
	v_lshl_add_u64 v[8:9], v[8:9], 3, s[42:43]
	s_delay_alu instid0(VALU_DEP_1) | instskip(NEXT) | instid1(VALU_DEP_1)
	v_lshl_add_u64 v[8:9], v[14:15], 3, v[8:9]
	v_lshl_add_u64 v[8:9], v[18:19], 3, v[8:9]
	global_load_b64 v[14:15], v[8:9], off
	s_wait_xcnt 0x0
	v_mov_b64_e32 v[8:9], 0
	s_wait_loadcnt 0x0
	v_cmpx_ne_u64_e64 s[30:31], v[14:15]
	s_cbranch_execz .LBB0_26
; %bb.20:                               ;   in Loop: Header=BB0_3 Depth=1
	v_cmp_lt_i64_e32 vcc_lo, -1, v[14:15]
	v_cmp_gt_i64_e64 s0, s[6:7], v[14:15]
	v_mov_b64_e32 v[8:9], 0
	s_mov_b32 s56, 0
	s_and_b32 s57, vcc_lo, s0
	s_delay_alu instid0(SALU_CYCLE_1)
	s_and_saveexec_b32 s0, s57
	s_cbranch_execz .LBB0_25
; %bb.21:                               ;   in Loop: Header=BB0_3 Depth=1
	v_mul_u64_e32 v[8:9], s[12:13], v[6:7]
	v_mul_u64_e32 v[18:19], s[14:15], v[14:15]
	;; [unrolled: 1-line block ×4, first 2 shown]
	s_and_not1_b32 vcc_lo, exec_lo, s1
	s_delay_alu instid0(VALU_DEP_4) | instskip(NEXT) | instid1(VALU_DEP_1)
	v_lshl_add_u64 v[8:9], v[8:9], 3, s[40:41]
	v_lshl_add_u64 v[8:9], v[18:19], 3, v[8:9]
	s_delay_alu instid0(VALU_DEP_1) | instskip(NEXT) | instid1(VALU_DEP_1)
	v_lshl_add_u64 v[8:9], v[20:21], 3, v[8:9]
	v_lshl_add_u64 v[8:9], v[22:23], 3, v[8:9]
	global_load_b64 v[8:9], v[8:9], off
	s_cbranch_vccnz .LBB0_23
; %bb.22:                               ;   in Loop: Header=BB0_3 Depth=1
	v_lshl_add_u64 v[14:15], v[14:15], 3, s[28:29]
	global_load_b64 v[14:15], v[14:15], off
	s_branch .LBB0_24
.LBB0_23:                               ;   in Loop: Header=BB0_3 Depth=1
	v_mov_b64_e32 v[14:15], 1.0
.LBB0_24:                               ;   in Loop: Header=BB0_3 Depth=1
	s_mov_b32 s56, exec_lo
	s_wait_loadcnt 0x0
	s_wait_xcnt 0x0
	s_delay_alu instid0(VALU_DEP_1)
	v_mul_f64_e64 v[8:9], v[14:15], -v[8:9]
.LBB0_25:                               ;   in Loop: Header=BB0_3 Depth=1
	s_or_b32 exec_lo, exec_lo, s0
	s_delay_alu instid0(SALU_CYCLE_1)
	s_or_not1_b32 s56, s56, exec_lo
.LBB0_26:                               ;   in Loop: Header=BB0_3 Depth=1
	s_or_b32 exec_lo, exec_lo, s55
	s_delay_alu instid0(SALU_CYCLE_1)
	s_or_b32 s61, s61, exec_lo
	s_and_saveexec_b32 s0, s56
	s_cbranch_execz .LBB0_2
; %bb.27:                               ;   in Loop: Header=BB0_3 Depth=1
	v_mul_u64_e32 v[6:7], s[36:37], v[6:7]
	v_mul_u64_e32 v[12:13], s[38:39], v[12:13]
	;; [unrolled: 1-line block ×3, first 2 shown]
	v_add_nc_u64_e32 v[0:1], s[46:47], v[0:1]
	v_add_nc_u64_e32 v[4:5], s[48:49], v[4:5]
	s_and_not1_b32 s61, s61, exec_lo
	s_delay_alu instid0(VALU_DEP_2) | instskip(SKIP_2) | instid1(VALU_DEP_1)
	v_cmp_le_i64_e32 vcc_lo, s[2:3], v[0:1]
	s_or_not1_b32 s34, vcc_lo, exec_lo
	v_lshl_add_u64 v[6:7], v[6:7], 3, s[26:27]
	v_lshl_add_u64 v[6:7], v[12:13], 3, v[6:7]
	s_delay_alu instid0(VALU_DEP_1)
	v_lshl_add_u64 v[6:7], v[10:11], 3, v[6:7]
	global_store_b64 v[6:7], v[8:9], off
	s_branch .LBB0_2
.LBB0_28:
	s_or_b32 exec_lo, exec_lo, s33
	s_and_saveexec_b32 s0, s60
	s_delay_alu instid0(SALU_CYCLE_1)
	s_xor_b32 s0, exec_lo, s0
	s_cbranch_execnz .LBB0_30
.LBB0_29:
	s_endpgm
.LBB0_30:
	s_trap 2
	; divergent unreachable
	s_endpgm
	.section	.rodata,"a",@progbits
	.p2align	6, 0x0
	.amdhsa_kernel _ZN2at6native12_GLOBAL__N_135nll_loss2d_forward_no_reduce_kernelIdEEvlN5torch10headeronly6detail27GenericPackedTensorAccessorINS5_14TensorAccessorIN3c108ArrayRefIlEET_Lm3ENS4_16DefaultPtrTraitsElEENS_6detail16IndexBoundsCheckILm4ElEESB_Lm4ESC_lEENS6_INS7_ISA_lLm2ESC_lEENSF_ILm3ElEElLm3ESC_lEENS6_INS7_ISA_SB_Lm2ESC_lEESJ_SB_Lm3ESC_lEEPKSB_l
		.amdhsa_group_segment_fixed_size 0
		.amdhsa_private_segment_fixed_size 0
		.amdhsa_kernarg_size 464
		.amdhsa_user_sgpr_count 2
		.amdhsa_user_sgpr_dispatch_ptr 0
		.amdhsa_user_sgpr_queue_ptr 0
		.amdhsa_user_sgpr_kernarg_segment_ptr 1
		.amdhsa_user_sgpr_dispatch_id 0
		.amdhsa_user_sgpr_kernarg_preload_length 0
		.amdhsa_user_sgpr_kernarg_preload_offset 0
		.amdhsa_user_sgpr_private_segment_size 0
		.amdhsa_wavefront_size32 1
		.amdhsa_uses_dynamic_stack 0
		.amdhsa_enable_private_segment 0
		.amdhsa_system_sgpr_workgroup_id_x 1
		.amdhsa_system_sgpr_workgroup_id_y 0
		.amdhsa_system_sgpr_workgroup_id_z 0
		.amdhsa_system_sgpr_workgroup_info 0
		.amdhsa_system_vgpr_workitem_id 0
		.amdhsa_next_free_vgpr 28
		.amdhsa_next_free_sgpr 71
		.amdhsa_named_barrier_count 0
		.amdhsa_reserve_vcc 1
		.amdhsa_float_round_mode_32 0
		.amdhsa_float_round_mode_16_64 0
		.amdhsa_float_denorm_mode_32 3
		.amdhsa_float_denorm_mode_16_64 3
		.amdhsa_fp16_overflow 0
		.amdhsa_memory_ordered 1
		.amdhsa_forward_progress 1
		.amdhsa_inst_pref_size 29
		.amdhsa_round_robin_scheduling 0
		.amdhsa_exception_fp_ieee_invalid_op 0
		.amdhsa_exception_fp_denorm_src 0
		.amdhsa_exception_fp_ieee_div_zero 0
		.amdhsa_exception_fp_ieee_overflow 0
		.amdhsa_exception_fp_ieee_underflow 0
		.amdhsa_exception_fp_ieee_inexact 0
		.amdhsa_exception_int_div_zero 0
	.end_amdhsa_kernel
	.section	.text._ZN2at6native12_GLOBAL__N_135nll_loss2d_forward_no_reduce_kernelIdEEvlN5torch10headeronly6detail27GenericPackedTensorAccessorINS5_14TensorAccessorIN3c108ArrayRefIlEET_Lm3ENS4_16DefaultPtrTraitsElEENS_6detail16IndexBoundsCheckILm4ElEESB_Lm4ESC_lEENS6_INS7_ISA_lLm2ESC_lEENSF_ILm3ElEElLm3ESC_lEENS6_INS7_ISA_SB_Lm2ESC_lEESJ_SB_Lm3ESC_lEEPKSB_l,"axG",@progbits,_ZN2at6native12_GLOBAL__N_135nll_loss2d_forward_no_reduce_kernelIdEEvlN5torch10headeronly6detail27GenericPackedTensorAccessorINS5_14TensorAccessorIN3c108ArrayRefIlEET_Lm3ENS4_16DefaultPtrTraitsElEENS_6detail16IndexBoundsCheckILm4ElEESB_Lm4ESC_lEENS6_INS7_ISA_lLm2ESC_lEENSF_ILm3ElEElLm3ESC_lEENS6_INS7_ISA_SB_Lm2ESC_lEESJ_SB_Lm3ESC_lEEPKSB_l,comdat
.Lfunc_end0:
	.size	_ZN2at6native12_GLOBAL__N_135nll_loss2d_forward_no_reduce_kernelIdEEvlN5torch10headeronly6detail27GenericPackedTensorAccessorINS5_14TensorAccessorIN3c108ArrayRefIlEET_Lm3ENS4_16DefaultPtrTraitsElEENS_6detail16IndexBoundsCheckILm4ElEESB_Lm4ESC_lEENS6_INS7_ISA_lLm2ESC_lEENSF_ILm3ElEElLm3ESC_lEENS6_INS7_ISA_SB_Lm2ESC_lEESJ_SB_Lm3ESC_lEEPKSB_l, .Lfunc_end0-_ZN2at6native12_GLOBAL__N_135nll_loss2d_forward_no_reduce_kernelIdEEvlN5torch10headeronly6detail27GenericPackedTensorAccessorINS5_14TensorAccessorIN3c108ArrayRefIlEET_Lm3ENS4_16DefaultPtrTraitsElEENS_6detail16IndexBoundsCheckILm4ElEESB_Lm4ESC_lEENS6_INS7_ISA_lLm2ESC_lEENSF_ILm3ElEElLm3ESC_lEENS6_INS7_ISA_SB_Lm2ESC_lEESJ_SB_Lm3ESC_lEEPKSB_l
                                        ; -- End function
	.set _ZN2at6native12_GLOBAL__N_135nll_loss2d_forward_no_reduce_kernelIdEEvlN5torch10headeronly6detail27GenericPackedTensorAccessorINS5_14TensorAccessorIN3c108ArrayRefIlEET_Lm3ENS4_16DefaultPtrTraitsElEENS_6detail16IndexBoundsCheckILm4ElEESB_Lm4ESC_lEENS6_INS7_ISA_lLm2ESC_lEENSF_ILm3ElEElLm3ESC_lEENS6_INS7_ISA_SB_Lm2ESC_lEESJ_SB_Lm3ESC_lEEPKSB_l.num_vgpr, 28
	.set _ZN2at6native12_GLOBAL__N_135nll_loss2d_forward_no_reduce_kernelIdEEvlN5torch10headeronly6detail27GenericPackedTensorAccessorINS5_14TensorAccessorIN3c108ArrayRefIlEET_Lm3ENS4_16DefaultPtrTraitsElEENS_6detail16IndexBoundsCheckILm4ElEESB_Lm4ESC_lEENS6_INS7_ISA_lLm2ESC_lEENSF_ILm3ElEElLm3ESC_lEENS6_INS7_ISA_SB_Lm2ESC_lEESJ_SB_Lm3ESC_lEEPKSB_l.num_agpr, 0
	.set _ZN2at6native12_GLOBAL__N_135nll_loss2d_forward_no_reduce_kernelIdEEvlN5torch10headeronly6detail27GenericPackedTensorAccessorINS5_14TensorAccessorIN3c108ArrayRefIlEET_Lm3ENS4_16DefaultPtrTraitsElEENS_6detail16IndexBoundsCheckILm4ElEESB_Lm4ESC_lEENS6_INS7_ISA_lLm2ESC_lEENSF_ILm3ElEElLm3ESC_lEENS6_INS7_ISA_SB_Lm2ESC_lEESJ_SB_Lm3ESC_lEEPKSB_l.numbered_sgpr, 71
	.set _ZN2at6native12_GLOBAL__N_135nll_loss2d_forward_no_reduce_kernelIdEEvlN5torch10headeronly6detail27GenericPackedTensorAccessorINS5_14TensorAccessorIN3c108ArrayRefIlEET_Lm3ENS4_16DefaultPtrTraitsElEENS_6detail16IndexBoundsCheckILm4ElEESB_Lm4ESC_lEENS6_INS7_ISA_lLm2ESC_lEENSF_ILm3ElEElLm3ESC_lEENS6_INS7_ISA_SB_Lm2ESC_lEESJ_SB_Lm3ESC_lEEPKSB_l.num_named_barrier, 0
	.set _ZN2at6native12_GLOBAL__N_135nll_loss2d_forward_no_reduce_kernelIdEEvlN5torch10headeronly6detail27GenericPackedTensorAccessorINS5_14TensorAccessorIN3c108ArrayRefIlEET_Lm3ENS4_16DefaultPtrTraitsElEENS_6detail16IndexBoundsCheckILm4ElEESB_Lm4ESC_lEENS6_INS7_ISA_lLm2ESC_lEENSF_ILm3ElEElLm3ESC_lEENS6_INS7_ISA_SB_Lm2ESC_lEESJ_SB_Lm3ESC_lEEPKSB_l.private_seg_size, 0
	.set _ZN2at6native12_GLOBAL__N_135nll_loss2d_forward_no_reduce_kernelIdEEvlN5torch10headeronly6detail27GenericPackedTensorAccessorINS5_14TensorAccessorIN3c108ArrayRefIlEET_Lm3ENS4_16DefaultPtrTraitsElEENS_6detail16IndexBoundsCheckILm4ElEESB_Lm4ESC_lEENS6_INS7_ISA_lLm2ESC_lEENSF_ILm3ElEElLm3ESC_lEENS6_INS7_ISA_SB_Lm2ESC_lEESJ_SB_Lm3ESC_lEEPKSB_l.uses_vcc, 1
	.set _ZN2at6native12_GLOBAL__N_135nll_loss2d_forward_no_reduce_kernelIdEEvlN5torch10headeronly6detail27GenericPackedTensorAccessorINS5_14TensorAccessorIN3c108ArrayRefIlEET_Lm3ENS4_16DefaultPtrTraitsElEENS_6detail16IndexBoundsCheckILm4ElEESB_Lm4ESC_lEENS6_INS7_ISA_lLm2ESC_lEENSF_ILm3ElEElLm3ESC_lEENS6_INS7_ISA_SB_Lm2ESC_lEESJ_SB_Lm3ESC_lEEPKSB_l.uses_flat_scratch, 0
	.set _ZN2at6native12_GLOBAL__N_135nll_loss2d_forward_no_reduce_kernelIdEEvlN5torch10headeronly6detail27GenericPackedTensorAccessorINS5_14TensorAccessorIN3c108ArrayRefIlEET_Lm3ENS4_16DefaultPtrTraitsElEENS_6detail16IndexBoundsCheckILm4ElEESB_Lm4ESC_lEENS6_INS7_ISA_lLm2ESC_lEENSF_ILm3ElEElLm3ESC_lEENS6_INS7_ISA_SB_Lm2ESC_lEESJ_SB_Lm3ESC_lEEPKSB_l.has_dyn_sized_stack, 0
	.set _ZN2at6native12_GLOBAL__N_135nll_loss2d_forward_no_reduce_kernelIdEEvlN5torch10headeronly6detail27GenericPackedTensorAccessorINS5_14TensorAccessorIN3c108ArrayRefIlEET_Lm3ENS4_16DefaultPtrTraitsElEENS_6detail16IndexBoundsCheckILm4ElEESB_Lm4ESC_lEENS6_INS7_ISA_lLm2ESC_lEENSF_ILm3ElEElLm3ESC_lEENS6_INS7_ISA_SB_Lm2ESC_lEESJ_SB_Lm3ESC_lEEPKSB_l.has_recursion, 0
	.set _ZN2at6native12_GLOBAL__N_135nll_loss2d_forward_no_reduce_kernelIdEEvlN5torch10headeronly6detail27GenericPackedTensorAccessorINS5_14TensorAccessorIN3c108ArrayRefIlEET_Lm3ENS4_16DefaultPtrTraitsElEENS_6detail16IndexBoundsCheckILm4ElEESB_Lm4ESC_lEENS6_INS7_ISA_lLm2ESC_lEENSF_ILm3ElEElLm3ESC_lEENS6_INS7_ISA_SB_Lm2ESC_lEESJ_SB_Lm3ESC_lEEPKSB_l.has_indirect_call, 0
	.section	.AMDGPU.csdata,"",@progbits
; Kernel info:
; codeLenInByte = 3700
; TotalNumSgprs: 73
; NumVgprs: 28
; ScratchSize: 0
; MemoryBound: 0
; FloatMode: 240
; IeeeMode: 1
; LDSByteSize: 0 bytes/workgroup (compile time only)
; SGPRBlocks: 0
; VGPRBlocks: 1
; NumSGPRsForWavesPerEU: 73
; NumVGPRsForWavesPerEU: 28
; NamedBarCnt: 0
; Occupancy: 16
; WaveLimiterHint : 1
; COMPUTE_PGM_RSRC2:SCRATCH_EN: 0
; COMPUTE_PGM_RSRC2:USER_SGPR: 2
; COMPUTE_PGM_RSRC2:TRAP_HANDLER: 0
; COMPUTE_PGM_RSRC2:TGID_X_EN: 1
; COMPUTE_PGM_RSRC2:TGID_Y_EN: 0
; COMPUTE_PGM_RSRC2:TGID_Z_EN: 0
; COMPUTE_PGM_RSRC2:TIDIG_COMP_CNT: 0
	.section	.text._ZN2at6native12_GLOBAL__N_135nll_loss2d_forward_no_reduce_kernelIfEEvlN5torch10headeronly6detail27GenericPackedTensorAccessorINS5_14TensorAccessorIN3c108ArrayRefIlEET_Lm3ENS4_16DefaultPtrTraitsElEENS_6detail16IndexBoundsCheckILm4ElEESB_Lm4ESC_lEENS6_INS7_ISA_lLm2ESC_lEENSF_ILm3ElEElLm3ESC_lEENS6_INS7_ISA_SB_Lm2ESC_lEESJ_SB_Lm3ESC_lEEPKSB_l,"axG",@progbits,_ZN2at6native12_GLOBAL__N_135nll_loss2d_forward_no_reduce_kernelIfEEvlN5torch10headeronly6detail27GenericPackedTensorAccessorINS5_14TensorAccessorIN3c108ArrayRefIlEET_Lm3ENS4_16DefaultPtrTraitsElEENS_6detail16IndexBoundsCheckILm4ElEESB_Lm4ESC_lEENS6_INS7_ISA_lLm2ESC_lEENSF_ILm3ElEElLm3ESC_lEENS6_INS7_ISA_SB_Lm2ESC_lEESJ_SB_Lm3ESC_lEEPKSB_l,comdat
	.globl	_ZN2at6native12_GLOBAL__N_135nll_loss2d_forward_no_reduce_kernelIfEEvlN5torch10headeronly6detail27GenericPackedTensorAccessorINS5_14TensorAccessorIN3c108ArrayRefIlEET_Lm3ENS4_16DefaultPtrTraitsElEENS_6detail16IndexBoundsCheckILm4ElEESB_Lm4ESC_lEENS6_INS7_ISA_lLm2ESC_lEENSF_ILm3ElEElLm3ESC_lEENS6_INS7_ISA_SB_Lm2ESC_lEESJ_SB_Lm3ESC_lEEPKSB_l ; -- Begin function _ZN2at6native12_GLOBAL__N_135nll_loss2d_forward_no_reduce_kernelIfEEvlN5torch10headeronly6detail27GenericPackedTensorAccessorINS5_14TensorAccessorIN3c108ArrayRefIlEET_Lm3ENS4_16DefaultPtrTraitsElEENS_6detail16IndexBoundsCheckILm4ElEESB_Lm4ESC_lEENS6_INS7_ISA_lLm2ESC_lEENSF_ILm3ElEElLm3ESC_lEENS6_INS7_ISA_SB_Lm2ESC_lEESJ_SB_Lm3ESC_lEEPKSB_l
	.p2align	8
	.type	_ZN2at6native12_GLOBAL__N_135nll_loss2d_forward_no_reduce_kernelIfEEvlN5torch10headeronly6detail27GenericPackedTensorAccessorINS5_14TensorAccessorIN3c108ArrayRefIlEET_Lm3ENS4_16DefaultPtrTraitsElEENS_6detail16IndexBoundsCheckILm4ElEESB_Lm4ESC_lEENS6_INS7_ISA_lLm2ESC_lEENSF_ILm3ElEElLm3ESC_lEENS6_INS7_ISA_SB_Lm2ESC_lEESJ_SB_Lm3ESC_lEEPKSB_l,@function
_ZN2at6native12_GLOBAL__N_135nll_loss2d_forward_no_reduce_kernelIfEEvlN5torch10headeronly6detail27GenericPackedTensorAccessorINS5_14TensorAccessorIN3c108ArrayRefIlEET_Lm3ENS4_16DefaultPtrTraitsElEENS_6detail16IndexBoundsCheckILm4ElEESB_Lm4ESC_lEENS6_INS7_ISA_lLm2ESC_lEENSF_ILm3ElEElLm3ESC_lEENS6_INS7_ISA_SB_Lm2ESC_lEESJ_SB_Lm3ESC_lEEPKSB_l: ; @_ZN2at6native12_GLOBAL__N_135nll_loss2d_forward_no_reduce_kernelIfEEvlN5torch10headeronly6detail27GenericPackedTensorAccessorINS5_14TensorAccessorIN3c108ArrayRefIlEET_Lm3ENS4_16DefaultPtrTraitsElEENS_6detail16IndexBoundsCheckILm4ElEESB_Lm4ESC_lEENS6_INS7_ISA_lLm2ESC_lEENSF_ILm3ElEElLm3ESC_lEENS6_INS7_ISA_SB_Lm2ESC_lEESJ_SB_Lm3ESC_lEEPKSB_l
; %bb.0:
	s_clause 0x1
	s_load_b32 s4, s[0:1], 0xdc
	s_load_b64 s[2:3], s[0:1], 0x0
	s_bfe_u32 s5, ttmp6, 0x4000c
	v_mov_b32_e32 v2, 0
	s_add_co_i32 s5, s5, 1
	s_and_b32 s6, ttmp6, 15
	s_mul_i32 s5, ttmp9, s5
	s_getreg_b32 s7, hwreg(HW_REG_IB_STS2, 6, 4)
	v_mov_b32_e32 v1, v2
	s_add_co_i32 s6, s6, s5
	s_mov_b32 s35, 0
	s_wait_kmcnt 0x0
	s_and_b32 s33, s4, 0xffff
	s_cmp_eq_u32 s7, 0
	s_cselect_b32 s4, ttmp9, s6
	s_delay_alu instid0(SALU_CYCLE_1) | instskip(SKIP_1) | instid1(VALU_DEP_1)
	v_mad_nc_u64_u32 v[0:1], s33, s4, v[0:1]
	s_mov_b32 s4, exec_lo
	v_cmpx_gt_i64_e64 s[2:3], v[0:1]
	s_cbranch_execz .LBB1_29
; %bb.1:
	s_clause 0x1
	s_load_b256 s[4:11], s[0:1], 0x10
	s_load_b128 s[28:31], s[0:1], 0xc0
	s_add_nc_u64 s[20:21], s[0:1], 0xd0
	s_load_b32 s34, s[20:21], 0x0
	s_clause 0x2
	s_load_b64 s[40:41], s[0:1], 0x8
	s_load_b256 s[12:19], s[0:1], 0x30
	s_load_b64 s[42:43], s[0:1], 0x50
	s_wait_xcnt 0x0
	s_clause 0x2
	s_load_b256 s[20:27], s[0:1], 0x70
	s_load_b64 s[44:45], s[0:1], 0xb8
	s_load_b128 s[36:39], s[0:1], 0xa8
	s_mov_b32 s47, s35
	s_mov_b32 s48, s35
	s_mov_b64 s[50:51], 0xffffffff
                                        ; implicit-def: $sgpr60
                                        ; implicit-def: $sgpr61
	s_wait_kmcnt 0x0
	v_cvt_f32_u32_e32 v3, s4
	s_cmp_lg_u64 s[28:29], 0
	s_mul_i32 s46, s34, s33
	s_mul_u64 s[52:53], s[8:9], s[4:5]
	s_cselect_b32 s1, -1, 0
	v_rcp_iflag_f32_e32 v4, v3
	v_nop
	v_mov_b32_e32 v3, v0
	s_mov_b32 s49, s46
	s_ashr_i32 s54, s5, 31
	s_mov_b32 s33, 0
	s_delay_alu instid0(TRANS32_DEP_1) | instskip(NEXT) | instid1(VALU_DEP_1)
	v_mul_f32_e32 v4, 0x4f7ffffe, v4
	v_cvt_u32_f32_e32 v16, v4
	v_mov_b64_e32 v[4:5], v[2:3]
	s_branch .LBB1_3
.LBB1_2:                                ;   in Loop: Header=BB1_3 Depth=1
	s_wait_xcnt 0x0
	s_or_b32 exec_lo, exec_lo, s0
	s_delay_alu instid0(SALU_CYCLE_1) | instskip(NEXT) | instid1(SALU_CYCLE_1)
	s_and_b32 s0, exec_lo, s34
	s_or_b32 s33, s0, s33
	s_and_not1_b32 s0, s60, exec_lo
	s_and_b32 s34, s61, exec_lo
	s_delay_alu instid0(SALU_CYCLE_1)
	s_or_b32 s60, s0, s34
	s_and_not1_b32 exec_lo, exec_lo, s33
	s_cbranch_execz .LBB1_28
.LBB1_3:                                ; =>This Inner Loop Header: Depth=1
	s_delay_alu instid0(VALU_DEP_1) | instskip(SKIP_1) | instid1(VALU_DEP_1)
	v_dual_mov_b32 v6, v5 :: v_dual_ashrrev_i32 v7, 31, v5
                                        ; implicit-def: $vgpr8_vgpr9
	s_mov_b32 s0, exec_lo
	v_dual_ashrrev_i32 v10, 31, v7 :: v_dual_bitop2_b32 v3, s5, v7 bitop3:0x54
	s_delay_alu instid0(VALU_DEP_1)
	v_cmpx_ne_u64_e32 0, v[2:3]
	s_xor_b32 s58, exec_lo, s0
	s_cbranch_execz .LBB1_5
; %bb.4:                                ;   in Loop: Header=BB1_3 Depth=1
	s_mov_b32 s55, s54
	v_dual_mov_b32 v11, v10 :: v_dual_mov_b32 v13, v2
	s_add_nc_u64 s[56:57], s[4:5], s[54:55]
	v_mov_b32_e32 v19, v2
	s_xor_b64 s[56:57], s[56:57], s[54:55]
	s_delay_alu instid0(VALU_DEP_2) | instskip(SKIP_4) | instid1(SALU_CYCLE_1)
	v_add_nc_u64_e32 v[8:9], v[6:7], v[10:11]
	s_cvt_f32_u32 s0, s56
	s_cvt_f32_u32 s34, s57
	s_sub_nc_u64 s[64:65], 0, s[56:57]
	v_mov_b32_e32 v23, v2
	s_fmamk_f32 s0, s34, 0x4f800000, s0
	s_delay_alu instid0(VALU_DEP_2) | instskip(SKIP_1) | instid1(SALU_CYCLE_1)
	v_xor_b32_e32 v12, v8, v10
	v_xor_b32_e32 v18, v9, v10
	v_s_rcp_f32 s0, s0
	s_delay_alu instid0(TRANS32_DEP_1) | instskip(NEXT) | instid1(SALU_CYCLE_3)
	s_mul_f32 s0, s0, 0x5f7ffffc
	s_mul_f32 s34, s0, 0x2f800000
	s_delay_alu instid0(SALU_CYCLE_3) | instskip(NEXT) | instid1(SALU_CYCLE_3)
	s_trunc_f32 s34, s34
	s_fmamk_f32 s0, s34, 0xcf800000, s0
	s_cvt_u32_f32 s63, s34
	s_delay_alu instid0(SALU_CYCLE_2) | instskip(NEXT) | instid1(SALU_CYCLE_3)
	s_cvt_u32_f32 s62, s0
	s_mul_u64 s[66:67], s[64:65], s[62:63]
	s_delay_alu instid0(SALU_CYCLE_1)
	s_mul_hi_u32 s69, s62, s67
	s_mul_i32 s68, s62, s67
	s_mul_hi_u32 s34, s62, s66
	s_mul_i32 s55, s63, s66
	s_add_nc_u64 s[68:69], s[34:35], s[68:69]
	s_mul_hi_u32 s0, s63, s66
	s_mul_hi_u32 s59, s63, s67
	s_add_co_u32 s34, s68, s55
	s_add_co_ci_u32 s34, s69, s0
	s_mul_i32 s66, s63, s67
	s_add_co_ci_u32 s67, s59, 0
	s_delay_alu instid0(SALU_CYCLE_1) | instskip(NEXT) | instid1(SALU_CYCLE_1)
	s_add_nc_u64 s[66:67], s[34:35], s[66:67]
	s_add_co_u32 s62, s62, s66
	s_cselect_b32 s0, -1, 0
	s_delay_alu instid0(SALU_CYCLE_1) | instskip(SKIP_1) | instid1(SALU_CYCLE_1)
	s_cmp_lg_u32 s0, 0
	s_add_co_ci_u32 s63, s63, s67
	s_mul_u64 s[64:65], s[64:65], s[62:63]
	s_delay_alu instid0(SALU_CYCLE_1)
	s_mul_hi_u32 s67, s62, s65
	s_mul_i32 s66, s62, s65
	s_mul_hi_u32 s34, s62, s64
	s_mul_i32 s55, s63, s64
	s_add_nc_u64 s[66:67], s[34:35], s[66:67]
	s_mul_hi_u32 s0, s63, s64
	s_mul_hi_u32 s59, s63, s65
	s_add_co_u32 s34, s66, s55
	s_add_co_ci_u32 s34, s67, s0
	s_mul_i32 s64, s63, s65
	s_add_co_ci_u32 s65, s59, 0
	s_delay_alu instid0(SALU_CYCLE_1) | instskip(NEXT) | instid1(SALU_CYCLE_1)
	s_add_nc_u64 s[64:65], s[34:35], s[64:65]
	s_add_co_u32 s0, s62, s64
	s_cselect_b32 s34, -1, 0
	v_nop
	v_mul_hi_u32 v22, v12, s0
	s_cmp_lg_u32 s34, 0
	s_add_co_ci_u32 s34, s63, s65
	s_and_b64 s[62:63], s[0:1], s[50:51]
	v_mul_u64_e32 v[14:15], s[34:35], v[12:13]
	v_mul_u64_e32 v[8:9], s[62:63], v[18:19]
	;; [unrolled: 1-line block ×3, first 2 shown]
	s_delay_alu instid0(VALU_DEP_3) | instskip(NEXT) | instid1(VALU_DEP_1)
	v_add_nc_u64_e32 v[14:15], v[22:23], v[14:15]
	v_add_co_u32 v3, vcc_lo, v14, v8
	s_delay_alu instid0(VALU_DEP_2) | instskip(NEXT) | instid1(VALU_DEP_4)
	v_add_co_ci_u32_e32 v22, vcc_lo, v15, v9, vcc_lo
	v_add_co_ci_u32_e32 v21, vcc_lo, 0, v21, vcc_lo
	s_delay_alu instid0(VALU_DEP_1) | instskip(NEXT) | instid1(VALU_DEP_1)
	v_add_nc_u64_e32 v[8:9], v[22:23], v[20:21]
	v_mul_u64_e32 v[14:15], s[56:57], v[8:9]
	s_delay_alu instid0(VALU_DEP_1) | instskip(NEXT) | instid1(VALU_DEP_2)
	v_sub_nc_u32_e32 v3, v18, v15
	v_sub_co_u32 v11, vcc_lo, v12, v14
	s_delay_alu instid0(VALU_DEP_1) | instskip(NEXT) | instid1(VALU_DEP_3)
	v_sub_co_ci_u32_e64 v17, null, v18, v15, vcc_lo
	v_subrev_co_ci_u32_e64 v3, null, s57, v3, vcc_lo
	s_delay_alu instid0(VALU_DEP_3) | instskip(SKIP_1) | instid1(VALU_DEP_3)
	v_sub_co_u32 v12, s0, v11, s56
	v_add_nc_u64_e32 v[14:15], 1, v[8:9]
	v_subrev_co_ci_u32_e64 v3, null, 0, v3, s0
	s_delay_alu instid0(VALU_DEP_3) | instskip(SKIP_1) | instid1(VALU_DEP_3)
	v_cmp_le_u32_e32 vcc_lo, s56, v12
	v_cndmask_b32_e64 v12, 0, -1, vcc_lo
	v_cmp_le_u32_e32 vcc_lo, s57, v3
	v_cndmask_b32_e64 v13, 0, -1, vcc_lo
	;; [unrolled: 2-line block ×4, first 2 shown]
	v_cmp_eq_u32_e32 vcc_lo, s57, v3
	v_cndmask_b32_e32 v3, v13, v12, vcc_lo
	v_cmp_eq_u32_e32 vcc_lo, s57, v17
	v_add_nc_u64_e32 v[12:13], 2, v[8:9]
	v_cndmask_b32_e32 v11, v18, v11, vcc_lo
	s_delay_alu instid0(VALU_DEP_4) | instskip(NEXT) | instid1(VALU_DEP_2)
	v_cmp_ne_u32_e32 vcc_lo, 0, v3
	v_cmp_ne_u32_e64 s0, 0, v11
	s_delay_alu instid0(VALU_DEP_4) | instskip(NEXT) | instid1(VALU_DEP_1)
	v_dual_cndmask_b32 v3, v15, v13, vcc_lo :: v_dual_cndmask_b32 v11, v14, v12, vcc_lo
	v_dual_cndmask_b32 v3, v9, v3, s0 :: v_dual_bitop2_b32 v12, s54, v10 bitop3:0x14
	s_delay_alu instid0(VALU_DEP_1) | instskip(NEXT) | instid1(VALU_DEP_2)
	v_mov_b32_e32 v13, v12
	v_dual_cndmask_b32 v8, v8, v11, s0 :: v_dual_bitop2_b32 v9, v3, v12 bitop3:0x14
	s_delay_alu instid0(VALU_DEP_1) | instskip(NEXT) | instid1(VALU_DEP_1)
	v_xor_b32_e32 v8, v8, v12
	v_sub_nc_u64_e32 v[8:9], v[8:9], v[12:13]
.LBB1_5:                                ;   in Loop: Header=BB1_3 Depth=1
	s_and_not1_saveexec_b32 s0, s58
	s_cbranch_execz .LBB1_7
; %bb.6:                                ;   in Loop: Header=BB1_3 Depth=1
	s_sub_co_i32 s34, 0, s4
	s_delay_alu instid0(SALU_CYCLE_1) | instskip(NEXT) | instid1(VALU_DEP_1)
	v_mul_lo_u32 v3, s34, v16
	v_mul_hi_u32 v3, v16, v3
	s_delay_alu instid0(VALU_DEP_1) | instskip(NEXT) | instid1(VALU_DEP_1)
	v_add_nc_u32_e32 v3, v16, v3
	v_mul_hi_u32 v3, v6, v3
	s_delay_alu instid0(VALU_DEP_1) | instskip(NEXT) | instid1(VALU_DEP_1)
	v_mul_lo_u32 v8, v3, s4
	v_dual_add_nc_u32 v9, 1, v3 :: v_dual_sub_nc_u32 v8, v6, v8
	s_delay_alu instid0(VALU_DEP_1) | instskip(SKIP_1) | instid1(VALU_DEP_2)
	v_subrev_nc_u32_e32 v11, s4, v8
	v_cmp_le_u32_e32 vcc_lo, s4, v8
	v_dual_cndmask_b32 v8, v8, v11 :: v_dual_cndmask_b32 v3, v3, v9
	s_delay_alu instid0(VALU_DEP_1) | instskip(NEXT) | instid1(VALU_DEP_2)
	v_cmp_le_u32_e32 vcc_lo, s4, v8
	v_add_nc_u32_e32 v9, 1, v3
	s_delay_alu instid0(VALU_DEP_1)
	v_dual_cndmask_b32 v8, v3, v9 :: v_dual_mov_b32 v9, v2
.LBB1_7:                                ;   in Loop: Header=BB1_3 Depth=1
	s_or_b32 exec_lo, exec_lo, s0
	s_delay_alu instid0(VALU_DEP_1) | instskip(SKIP_1) | instid1(VALU_DEP_1)
	v_or_b32_e32 v3, s9, v9
                                        ; implicit-def: $vgpr12_vgpr13
	s_mov_b32 s0, exec_lo
	v_cmpx_ne_u64_e32 0, v[2:3]
	s_xor_b32 s55, exec_lo, s0
	s_cbranch_execz .LBB1_9
; %bb.8:                                ;   in Loop: Header=BB1_3 Depth=1
	s_ashr_i32 s56, s9, 31
	v_dual_mov_b32 v19, v2 :: v_dual_ashrrev_i32 v12, 31, v9
	s_mov_b32 s57, s56
	v_mov_b32_e32 v27, v2
	s_add_nc_u64 s[58:59], s[8:9], s[56:57]
	s_delay_alu instid0(VALU_DEP_2) | instskip(SKIP_1) | instid1(SALU_CYCLE_1)
	v_mov_b32_e32 v13, v12
	s_xor_b64 s[56:57], s[58:59], s[56:57]
	s_cvt_f32_u32 s0, s56
	s_cvt_f32_u32 s34, s57
	s_sub_nc_u64 s[62:63], 0, s[56:57]
	v_add_nc_u64_e32 v[14:15], v[8:9], v[12:13]
	v_mov_b32_e32 v23, v2
	s_fmamk_f32 s0, s34, 0x4f800000, s0
	s_delay_alu instid0(SALU_CYCLE_3) | instskip(NEXT) | instid1(VALU_DEP_2)
	v_s_rcp_f32 s0, s0
	v_xor_b32_e32 v18, v14, v12
	s_delay_alu instid0(VALU_DEP_3) | instskip(NEXT) | instid1(TRANS32_DEP_1)
	v_xor_b32_e32 v22, v15, v12
	s_mul_f32 s0, s0, 0x5f7ffffc
	s_delay_alu instid0(SALU_CYCLE_3) | instskip(NEXT) | instid1(SALU_CYCLE_3)
	s_mul_f32 s34, s0, 0x2f800000
	s_trunc_f32 s34, s34
	s_delay_alu instid0(SALU_CYCLE_3) | instskip(SKIP_1) | instid1(SALU_CYCLE_2)
	s_fmamk_f32 s0, s34, 0xcf800000, s0
	s_cvt_u32_f32 s59, s34
	s_cvt_u32_f32 s58, s0
	s_delay_alu instid0(SALU_CYCLE_3) | instskip(NEXT) | instid1(SALU_CYCLE_1)
	s_mul_u64 s[64:65], s[62:63], s[58:59]
	s_mul_hi_u32 s67, s58, s65
	s_mul_i32 s66, s58, s65
	s_mul_hi_u32 s34, s58, s64
	s_mul_i32 s68, s59, s64
	s_add_nc_u64 s[66:67], s[34:35], s[66:67]
	s_mul_hi_u32 s0, s59, s64
	s_mul_hi_u32 s69, s59, s65
	s_add_co_u32 s34, s66, s68
	s_add_co_ci_u32 s34, s67, s0
	s_mul_i32 s64, s59, s65
	s_add_co_ci_u32 s65, s69, 0
	s_delay_alu instid0(SALU_CYCLE_1) | instskip(NEXT) | instid1(SALU_CYCLE_1)
	s_add_nc_u64 s[64:65], s[34:35], s[64:65]
	s_add_co_u32 s58, s58, s64
	s_cselect_b32 s0, -1, 0
	s_delay_alu instid0(SALU_CYCLE_1) | instskip(SKIP_1) | instid1(SALU_CYCLE_1)
	s_cmp_lg_u32 s0, 0
	s_add_co_ci_u32 s59, s59, s65
	s_mul_u64 s[62:63], s[62:63], s[58:59]
	s_delay_alu instid0(SALU_CYCLE_1)
	s_mul_hi_u32 s65, s58, s63
	s_mul_i32 s64, s58, s63
	s_mul_hi_u32 s34, s58, s62
	s_mul_i32 s66, s59, s62
	s_add_nc_u64 s[64:65], s[34:35], s[64:65]
	s_mul_hi_u32 s0, s59, s62
	s_mul_hi_u32 s67, s59, s63
	s_add_co_u32 s34, s64, s66
	s_add_co_ci_u32 s34, s65, s0
	s_mul_i32 s62, s59, s63
	s_add_co_ci_u32 s63, s67, 0
	s_delay_alu instid0(SALU_CYCLE_1) | instskip(NEXT) | instid1(SALU_CYCLE_1)
	s_add_nc_u64 s[62:63], s[34:35], s[62:63]
	s_add_co_u32 s0, s58, s62
	s_cselect_b32 s34, -1, 0
	v_mul_hi_u32 v26, v18, s0
	s_cmp_lg_u32 s34, 0
	s_add_co_ci_u32 s34, s59, s63
	s_and_b64 s[58:59], s[0:1], s[50:51]
	v_mul_u64_e32 v[20:21], s[34:35], v[18:19]
	v_mul_u64_e32 v[14:15], s[58:59], v[22:23]
	;; [unrolled: 1-line block ×3, first 2 shown]
	s_delay_alu instid0(VALU_DEP_3) | instskip(NEXT) | instid1(VALU_DEP_1)
	v_add_nc_u64_e32 v[20:21], v[26:27], v[20:21]
	v_add_co_u32 v3, vcc_lo, v20, v14
	s_delay_alu instid0(VALU_DEP_2) | instskip(NEXT) | instid1(VALU_DEP_4)
	v_add_co_ci_u32_e32 v26, vcc_lo, v21, v15, vcc_lo
	v_add_co_ci_u32_e32 v25, vcc_lo, 0, v25, vcc_lo
	s_delay_alu instid0(VALU_DEP_1) | instskip(NEXT) | instid1(VALU_DEP_1)
	v_add_nc_u64_e32 v[14:15], v[26:27], v[24:25]
	v_mul_u64_e32 v[14:15], s[56:57], v[14:15]
	s_delay_alu instid0(VALU_DEP_1) | instskip(NEXT) | instid1(VALU_DEP_1)
	v_sub_co_u32 v11, vcc_lo, v18, v14
	v_sub_co_ci_u32_e64 v14, null, v22, v15, vcc_lo
	s_delay_alu instid0(VALU_DEP_2) | instskip(NEXT) | instid1(VALU_DEP_1)
	v_cmp_le_u32_e64 s0, s56, v11
	v_cndmask_b32_e64 v18, 0, -1, s0
	v_sub_nc_u32_e32 v3, v22, v15
	s_delay_alu instid0(VALU_DEP_1) | instskip(SKIP_1) | instid1(VALU_DEP_1)
	v_subrev_co_ci_u32_e64 v3, null, s57, v3, vcc_lo
	v_sub_co_u32 v15, vcc_lo, v11, s56
	v_subrev_co_ci_u32_e64 v17, null, 0, v3, vcc_lo
	s_delay_alu instid0(VALU_DEP_2) | instskip(SKIP_2) | instid1(VALU_DEP_3)
	v_cmp_le_u32_e64 s0, s56, v15
	v_subrev_co_ci_u32_e64 v3, null, s57, v3, vcc_lo
	v_cmp_le_u32_e32 vcc_lo, s57, v14
	v_cndmask_b32_e64 v19, 0, -1, s0
	v_cmp_le_u32_e64 s0, s57, v17
	v_cndmask_b32_e64 v21, 0, -1, vcc_lo
	v_cmp_eq_u32_e32 vcc_lo, s57, v17
	s_delay_alu instid0(VALU_DEP_3) | instskip(SKIP_1) | instid1(VALU_DEP_2)
	v_cndmask_b32_e64 v20, 0, -1, s0
	v_cmp_eq_u32_e64 s0, s57, v14
	v_cndmask_b32_e32 v19, v20, v19, vcc_lo
	v_sub_co_u32 v20, vcc_lo, v15, s56
	s_delay_alu instid0(VALU_DEP_1) | instskip(NEXT) | instid1(VALU_DEP_3)
	v_subrev_co_ci_u32_e64 v3, null, 0, v3, vcc_lo
	v_cmp_ne_u32_e32 vcc_lo, 0, v19
	v_cndmask_b32_e64 v18, v21, v18, s0
	s_delay_alu instid0(VALU_DEP_3) | instskip(NEXT) | instid1(VALU_DEP_2)
	v_dual_cndmask_b32 v3, v17, v3, vcc_lo :: v_dual_cndmask_b32 v15, v15, v20, vcc_lo
	v_cmp_ne_u32_e32 vcc_lo, 0, v18
	s_delay_alu instid0(VALU_DEP_2) | instskip(NEXT) | instid1(VALU_DEP_1)
	v_cndmask_b32_e32 v11, v11, v15, vcc_lo
	v_dual_cndmask_b32 v3, v14, v3, vcc_lo :: v_dual_bitop2_b32 v14, v11, v12 bitop3:0x14
	s_delay_alu instid0(VALU_DEP_1) | instskip(NEXT) | instid1(VALU_DEP_1)
	v_xor_b32_e32 v15, v3, v12
	v_sub_nc_u64_e32 v[12:13], v[14:15], v[12:13]
.LBB1_9:                                ;   in Loop: Header=BB1_3 Depth=1
	s_and_not1_saveexec_b32 s0, s55
	s_cbranch_execz .LBB1_11
; %bb.10:                               ;   in Loop: Header=BB1_3 Depth=1
	v_cvt_f32_u32_e32 v3, s8
	s_sub_co_i32 s34, 0, s8
	v_mov_b32_e32 v13, v2
	s_delay_alu instid0(VALU_DEP_2) | instskip(SKIP_1) | instid1(TRANS32_DEP_1)
	v_rcp_iflag_f32_e32 v3, v3
	v_nop
	v_mul_f32_e32 v3, 0x4f7ffffe, v3
	s_delay_alu instid0(VALU_DEP_1) | instskip(NEXT) | instid1(VALU_DEP_1)
	v_cvt_u32_f32_e32 v3, v3
	v_mul_lo_u32 v11, s34, v3
	s_delay_alu instid0(VALU_DEP_1) | instskip(NEXT) | instid1(VALU_DEP_1)
	v_mul_hi_u32 v11, v3, v11
	v_add_nc_u32_e32 v3, v3, v11
	s_delay_alu instid0(VALU_DEP_1) | instskip(NEXT) | instid1(VALU_DEP_1)
	v_mul_hi_u32 v3, v8, v3
	v_mul_lo_u32 v3, v3, s8
	s_delay_alu instid0(VALU_DEP_1) | instskip(NEXT) | instid1(VALU_DEP_1)
	v_sub_nc_u32_e32 v3, v8, v3
	v_subrev_nc_u32_e32 v11, s8, v3
	v_cmp_le_u32_e32 vcc_lo, s8, v3
	s_delay_alu instid0(VALU_DEP_2) | instskip(NEXT) | instid1(VALU_DEP_1)
	v_cndmask_b32_e32 v3, v3, v11, vcc_lo
	v_subrev_nc_u32_e32 v11, s8, v3
	v_cmp_le_u32_e32 vcc_lo, s8, v3
	s_delay_alu instid0(VALU_DEP_2)
	v_cndmask_b32_e32 v12, v3, v11, vcc_lo
.LBB1_11:                               ;   in Loop: Header=BB1_3 Depth=1
	s_or_b32 exec_lo, exec_lo, s0
	v_or_b32_e32 v3, s53, v7
                                        ; implicit-def: $vgpr14_vgpr15
	s_mov_b32 s0, exec_lo
	s_delay_alu instid0(VALU_DEP_1)
	v_cmpx_ne_u64_e32 0, v[2:3]
	s_xor_b32 s55, exec_lo, s0
	s_cbranch_execz .LBB1_13
; %bb.12:                               ;   in Loop: Header=BB1_3 Depth=1
	s_ashr_i32 s56, s53, 31
	v_dual_mov_b32 v11, v10 :: v_dual_mov_b32 v19, v2
	s_mov_b32 s57, s56
	v_mov_b32_e32 v27, v2
	s_add_nc_u64 s[58:59], s[52:53], s[56:57]
	s_delay_alu instid0(VALU_DEP_2)
	v_add_nc_u64_e32 v[14:15], v[6:7], v[10:11]
	s_xor_b64 s[58:59], s[58:59], s[56:57]
	v_mov_b32_e32 v23, v2
	s_cvt_f32_u32 s0, s58
	s_cvt_f32_u32 s34, s59
	s_sub_nc_u64 s[64:65], 0, s[58:59]
	s_delay_alu instid0(VALU_DEP_2) | instskip(NEXT) | instid1(SALU_CYCLE_1)
	v_xor_b32_e32 v18, v14, v10
	s_fmamk_f32 s0, s34, 0x4f800000, s0
	v_xor_b32_e32 v22, v15, v10
	v_xor_b32_e32 v10, s56, v10
	s_delay_alu instid0(SALU_CYCLE_1) | instskip(NEXT) | instid1(TRANS32_DEP_1)
	v_s_rcp_f32 s0, s0
	s_mul_f32 s0, s0, 0x5f7ffffc
	s_delay_alu instid0(SALU_CYCLE_3) | instskip(NEXT) | instid1(SALU_CYCLE_3)
	s_mul_f32 s34, s0, 0x2f800000
	s_trunc_f32 s34, s34
	s_delay_alu instid0(SALU_CYCLE_3) | instskip(SKIP_1) | instid1(SALU_CYCLE_2)
	s_fmamk_f32 s0, s34, 0xcf800000, s0
	s_cvt_u32_f32 s63, s34
	s_cvt_u32_f32 s62, s0
	s_delay_alu instid0(SALU_CYCLE_3) | instskip(NEXT) | instid1(SALU_CYCLE_1)
	s_mul_u64 s[66:67], s[64:65], s[62:63]
	s_mul_hi_u32 s69, s62, s67
	s_mul_i32 s68, s62, s67
	s_mul_hi_u32 s34, s62, s66
	s_mul_i32 s57, s63, s66
	s_add_nc_u64 s[68:69], s[34:35], s[68:69]
	s_mul_hi_u32 s0, s63, s66
	s_mul_hi_u32 s70, s63, s67
	s_add_co_u32 s34, s68, s57
	s_add_co_ci_u32 s34, s69, s0
	s_mul_i32 s66, s63, s67
	s_add_co_ci_u32 s67, s70, 0
	s_delay_alu instid0(SALU_CYCLE_1) | instskip(NEXT) | instid1(SALU_CYCLE_1)
	s_add_nc_u64 s[66:67], s[34:35], s[66:67]
	s_add_co_u32 s62, s62, s66
	s_cselect_b32 s0, -1, 0
	s_delay_alu instid0(SALU_CYCLE_1) | instskip(SKIP_1) | instid1(SALU_CYCLE_1)
	s_cmp_lg_u32 s0, 0
	s_add_co_ci_u32 s63, s63, s67
	s_mul_u64 s[64:65], s[64:65], s[62:63]
	s_delay_alu instid0(SALU_CYCLE_1)
	s_mul_hi_u32 s67, s62, s65
	s_mul_i32 s66, s62, s65
	s_mul_hi_u32 s34, s62, s64
	s_mul_i32 s57, s63, s64
	s_add_nc_u64 s[66:67], s[34:35], s[66:67]
	s_mul_hi_u32 s0, s63, s64
	s_mul_hi_u32 s68, s63, s65
	s_add_co_u32 s34, s66, s57
	s_add_co_ci_u32 s34, s67, s0
	s_mul_i32 s64, s63, s65
	s_add_co_ci_u32 s65, s68, 0
	s_delay_alu instid0(SALU_CYCLE_1) | instskip(NEXT) | instid1(SALU_CYCLE_1)
	s_add_nc_u64 s[64:65], s[34:35], s[64:65]
	s_add_co_u32 s0, s62, s64
	s_cselect_b32 s34, -1, 0
	v_nop
	v_mul_hi_u32 v26, v18, s0
	s_cmp_lg_u32 s34, 0
	s_add_co_ci_u32 s34, s63, s65
	s_and_b64 s[62:63], s[0:1], s[50:51]
	v_mul_u64_e32 v[20:21], s[34:35], v[18:19]
	v_mul_u64_e32 v[14:15], s[62:63], v[22:23]
	v_mul_u64_e32 v[24:25], s[34:35], v[22:23]
	s_delay_alu instid0(VALU_DEP_3) | instskip(NEXT) | instid1(VALU_DEP_1)
	v_add_nc_u64_e32 v[20:21], v[26:27], v[20:21]
	v_add_co_u32 v3, vcc_lo, v20, v14
	s_delay_alu instid0(VALU_DEP_2) | instskip(NEXT) | instid1(VALU_DEP_4)
	v_add_co_ci_u32_e32 v26, vcc_lo, v21, v15, vcc_lo
	v_add_co_ci_u32_e32 v25, vcc_lo, 0, v25, vcc_lo
	s_delay_alu instid0(VALU_DEP_1) | instskip(NEXT) | instid1(VALU_DEP_1)
	v_add_nc_u64_e32 v[14:15], v[26:27], v[24:25]
	v_mul_u64_e32 v[20:21], s[58:59], v[14:15]
	s_delay_alu instid0(VALU_DEP_1) | instskip(NEXT) | instid1(VALU_DEP_2)
	v_sub_nc_u32_e32 v3, v22, v21
	v_sub_co_u32 v11, vcc_lo, v18, v20
	s_delay_alu instid0(VALU_DEP_1) | instskip(NEXT) | instid1(VALU_DEP_3)
	v_sub_co_ci_u32_e64 v22, null, v22, v21, vcc_lo
	v_subrev_co_ci_u32_e64 v3, null, s59, v3, vcc_lo
	s_delay_alu instid0(VALU_DEP_3) | instskip(SKIP_1) | instid1(VALU_DEP_3)
	v_sub_co_u32 v17, s0, v11, s58
	v_add_nc_u64_e32 v[20:21], 1, v[14:15]
	v_subrev_co_ci_u32_e64 v3, null, 0, v3, s0
	s_delay_alu instid0(VALU_DEP_3) | instskip(SKIP_1) | instid1(VALU_DEP_3)
	v_cmp_le_u32_e32 vcc_lo, s58, v17
	v_cndmask_b32_e64 v17, 0, -1, vcc_lo
	v_cmp_le_u32_e32 vcc_lo, s59, v3
	v_cndmask_b32_e64 v18, 0, -1, vcc_lo
	;; [unrolled: 2-line block ×4, first 2 shown]
	v_cmp_eq_u32_e32 vcc_lo, s59, v3
	v_cndmask_b32_e32 v3, v18, v17, vcc_lo
	v_cmp_eq_u32_e32 vcc_lo, s59, v22
	v_add_nc_u64_e32 v[18:19], 2, v[14:15]
	v_cndmask_b32_e32 v11, v23, v11, vcc_lo
	s_delay_alu instid0(VALU_DEP_4) | instskip(NEXT) | instid1(VALU_DEP_2)
	v_cmp_ne_u32_e32 vcc_lo, 0, v3
	v_cmp_ne_u32_e64 s0, 0, v11
	s_delay_alu instid0(VALU_DEP_4) | instskip(NEXT) | instid1(VALU_DEP_1)
	v_dual_cndmask_b32 v3, v21, v19, vcc_lo :: v_dual_cndmask_b32 v11, v20, v18, vcc_lo
	v_cndmask_b32_e64 v3, v15, v3, s0
	s_delay_alu instid0(VALU_DEP_2) | instskip(NEXT) | instid1(VALU_DEP_2)
	v_cndmask_b32_e64 v14, v14, v11, s0
	v_dual_mov_b32 v11, v10 :: v_dual_bitop2_b32 v15, v3, v10 bitop3:0x14
	s_delay_alu instid0(VALU_DEP_2) | instskip(NEXT) | instid1(VALU_DEP_1)
	v_xor_b32_e32 v14, v14, v10
	v_sub_nc_u64_e32 v[14:15], v[14:15], v[10:11]
.LBB1_13:                               ;   in Loop: Header=BB1_3 Depth=1
	s_and_not1_saveexec_b32 s0, s55
	s_cbranch_execz .LBB1_15
; %bb.14:                               ;   in Loop: Header=BB1_3 Depth=1
	v_cvt_f32_u32_e32 v3, s52
	s_sub_co_i32 s34, 0, s52
	v_mov_b32_e32 v15, v2
	s_delay_alu instid0(VALU_DEP_2) | instskip(SKIP_1) | instid1(TRANS32_DEP_1)
	v_rcp_iflag_f32_e32 v3, v3
	v_nop
	v_mul_f32_e32 v3, 0x4f7ffffe, v3
	s_delay_alu instid0(VALU_DEP_1) | instskip(NEXT) | instid1(VALU_DEP_1)
	v_cvt_u32_f32_e32 v3, v3
	v_mul_lo_u32 v10, s34, v3
	s_delay_alu instid0(VALU_DEP_1) | instskip(NEXT) | instid1(VALU_DEP_1)
	v_mul_hi_u32 v10, v3, v10
	v_add_nc_u32_e32 v3, v3, v10
	s_delay_alu instid0(VALU_DEP_1) | instskip(NEXT) | instid1(VALU_DEP_1)
	v_mul_hi_u32 v3, v5, v3
	v_mul_lo_u32 v10, v3, s52
	s_delay_alu instid0(VALU_DEP_1) | instskip(NEXT) | instid1(VALU_DEP_1)
	v_sub_nc_u32_e32 v10, v5, v10
	v_subrev_nc_u32_e32 v14, s52, v10
	v_cmp_le_u32_e32 vcc_lo, s52, v10
	s_delay_alu instid0(VALU_DEP_2) | instskip(NEXT) | instid1(VALU_DEP_1)
	v_dual_cndmask_b32 v10, v10, v14 :: v_dual_add_nc_u32 v11, 1, v3
	v_cndmask_b32_e32 v3, v3, v11, vcc_lo
	s_delay_alu instid0(VALU_DEP_2) | instskip(NEXT) | instid1(VALU_DEP_2)
	v_cmp_le_u32_e32 vcc_lo, s52, v10
	v_add_nc_u32_e32 v11, 1, v3
	s_delay_alu instid0(VALU_DEP_1)
	v_cndmask_b32_e32 v14, v3, v11, vcc_lo
.LBB1_15:                               ;   in Loop: Header=BB1_3 Depth=1
	s_or_b32 exec_lo, exec_lo, s0
	s_delay_alu instid0(VALU_DEP_1) | instskip(SKIP_1) | instid1(VALU_DEP_1)
	v_or_b32_e32 v3, s11, v15
                                        ; implicit-def: $vgpr10_vgpr11
	s_mov_b32 s0, exec_lo
	v_cmpx_ne_u64_e32 0, v[2:3]
	s_xor_b32 s55, exec_lo, s0
	s_cbranch_execz .LBB1_17
; %bb.16:                               ;   in Loop: Header=BB1_3 Depth=1
	s_ashr_i32 s56, s11, 31
	v_dual_mov_b32 v19, v2 :: v_dual_ashrrev_i32 v10, 31, v15
	s_mov_b32 s57, s56
	v_mov_b32_e32 v23, v2
	s_add_nc_u64 s[58:59], s[10:11], s[56:57]
	s_delay_alu instid0(VALU_DEP_2)
	v_mov_b32_e32 v11, v10
	s_xor_b64 s[56:57], s[58:59], s[56:57]
	v_mov_b32_e32 v27, v2
	s_cvt_f32_u32 s0, s56
	s_cvt_f32_u32 s34, s57
	s_sub_nc_u64 s[62:63], 0, s[56:57]
	v_add_nc_u64_e32 v[14:15], v[14:15], v[10:11]
	s_delay_alu instid0(SALU_CYCLE_1) | instskip(NEXT) | instid1(SALU_CYCLE_3)
	s_fmamk_f32 s0, s34, 0x4f800000, s0
	v_s_rcp_f32 s0, s0
	s_delay_alu instid0(VALU_DEP_1) | instskip(NEXT) | instid1(VALU_DEP_2)
	v_xor_b32_e32 v18, v14, v10
	v_xor_b32_e32 v22, v15, v10
	s_delay_alu instid0(TRANS32_DEP_1) | instskip(NEXT) | instid1(SALU_CYCLE_3)
	s_mul_f32 s0, s0, 0x5f7ffffc
	s_mul_f32 s34, s0, 0x2f800000
	s_delay_alu instid0(SALU_CYCLE_3) | instskip(NEXT) | instid1(SALU_CYCLE_3)
	s_trunc_f32 s34, s34
	s_fmamk_f32 s0, s34, 0xcf800000, s0
	s_cvt_u32_f32 s59, s34
	s_delay_alu instid0(SALU_CYCLE_2) | instskip(NEXT) | instid1(SALU_CYCLE_3)
	s_cvt_u32_f32 s58, s0
	s_mul_u64 s[64:65], s[62:63], s[58:59]
	s_delay_alu instid0(SALU_CYCLE_1)
	s_mul_hi_u32 s67, s58, s65
	s_mul_i32 s66, s58, s65
	s_mul_hi_u32 s34, s58, s64
	s_mul_i32 s68, s59, s64
	s_add_nc_u64 s[66:67], s[34:35], s[66:67]
	s_mul_hi_u32 s0, s59, s64
	s_mul_hi_u32 s69, s59, s65
	s_add_co_u32 s34, s66, s68
	s_add_co_ci_u32 s34, s67, s0
	s_mul_i32 s64, s59, s65
	s_add_co_ci_u32 s65, s69, 0
	s_delay_alu instid0(SALU_CYCLE_1) | instskip(NEXT) | instid1(SALU_CYCLE_1)
	s_add_nc_u64 s[64:65], s[34:35], s[64:65]
	s_add_co_u32 s58, s58, s64
	s_cselect_b32 s0, -1, 0
	s_delay_alu instid0(SALU_CYCLE_1) | instskip(SKIP_1) | instid1(SALU_CYCLE_1)
	s_cmp_lg_u32 s0, 0
	s_add_co_ci_u32 s59, s59, s65
	s_mul_u64 s[62:63], s[62:63], s[58:59]
	s_delay_alu instid0(SALU_CYCLE_1)
	s_mul_hi_u32 s65, s58, s63
	s_mul_i32 s64, s58, s63
	s_mul_hi_u32 s34, s58, s62
	s_mul_i32 s66, s59, s62
	s_add_nc_u64 s[64:65], s[34:35], s[64:65]
	s_mul_hi_u32 s0, s59, s62
	s_mul_hi_u32 s67, s59, s63
	s_add_co_u32 s34, s64, s66
	s_add_co_ci_u32 s34, s65, s0
	s_mul_i32 s62, s59, s63
	s_add_co_ci_u32 s63, s67, 0
	s_delay_alu instid0(SALU_CYCLE_1) | instskip(NEXT) | instid1(SALU_CYCLE_1)
	s_add_nc_u64 s[62:63], s[34:35], s[62:63]
	s_add_co_u32 s0, s58, s62
	s_cselect_b32 s34, -1, 0
	v_mul_hi_u32 v26, v18, s0
	s_cmp_lg_u32 s34, 0
	s_add_co_ci_u32 s34, s59, s63
	s_and_b64 s[58:59], s[0:1], s[50:51]
	v_mul_u64_e32 v[20:21], s[34:35], v[18:19]
	v_mul_u64_e32 v[14:15], s[58:59], v[22:23]
	;; [unrolled: 1-line block ×3, first 2 shown]
	s_delay_alu instid0(VALU_DEP_3) | instskip(NEXT) | instid1(VALU_DEP_1)
	v_add_nc_u64_e32 v[20:21], v[26:27], v[20:21]
	v_add_co_u32 v3, vcc_lo, v20, v14
	s_delay_alu instid0(VALU_DEP_2) | instskip(NEXT) | instid1(VALU_DEP_4)
	v_add_co_ci_u32_e32 v26, vcc_lo, v21, v15, vcc_lo
	v_add_co_ci_u32_e32 v25, vcc_lo, 0, v25, vcc_lo
	s_delay_alu instid0(VALU_DEP_1) | instskip(NEXT) | instid1(VALU_DEP_1)
	v_add_nc_u64_e32 v[14:15], v[26:27], v[24:25]
	v_mul_u64_e32 v[14:15], s[56:57], v[14:15]
	s_delay_alu instid0(VALU_DEP_1) | instskip(NEXT) | instid1(VALU_DEP_2)
	v_sub_nc_u32_e32 v3, v22, v15
	v_sub_co_u32 v14, vcc_lo, v18, v14
	s_delay_alu instid0(VALU_DEP_1) | instskip(NEXT) | instid1(VALU_DEP_3)
	v_sub_co_ci_u32_e64 v15, null, v22, v15, vcc_lo
	v_subrev_co_ci_u32_e64 v3, null, s57, v3, vcc_lo
	s_delay_alu instid0(VALU_DEP_3) | instskip(SKIP_1) | instid1(VALU_DEP_3)
	v_sub_co_u32 v17, vcc_lo, v14, s56
	v_cmp_le_u32_e64 s0, s56, v14
	v_subrev_co_ci_u32_e64 v18, null, 0, v3, vcc_lo
	v_subrev_co_ci_u32_e64 v3, null, s57, v3, vcc_lo
	s_delay_alu instid0(VALU_DEP_3) | instskip(SKIP_2) | instid1(VALU_DEP_2)
	v_cndmask_b32_e64 v19, 0, -1, s0
	v_cmp_le_u32_e64 s0, s56, v17
	v_cmp_le_u32_e32 vcc_lo, s57, v15
	v_cndmask_b32_e64 v20, 0, -1, s0
	v_cmp_le_u32_e64 s0, s57, v18
	v_cndmask_b32_e64 v22, 0, -1, vcc_lo
	v_cmp_eq_u32_e32 vcc_lo, s57, v18
	s_delay_alu instid0(VALU_DEP_3) | instskip(SKIP_1) | instid1(VALU_DEP_2)
	v_cndmask_b32_e64 v21, 0, -1, s0
	v_cmp_eq_u32_e64 s0, s57, v15
	v_cndmask_b32_e32 v20, v21, v20, vcc_lo
	v_sub_co_u32 v21, vcc_lo, v17, s56
	s_delay_alu instid0(VALU_DEP_1) | instskip(NEXT) | instid1(VALU_DEP_3)
	v_subrev_co_ci_u32_e64 v3, null, 0, v3, vcc_lo
	v_cmp_ne_u32_e32 vcc_lo, 0, v20
	v_cndmask_b32_e64 v19, v22, v19, s0
	s_delay_alu instid0(VALU_DEP_3) | instskip(NEXT) | instid1(VALU_DEP_2)
	v_dual_cndmask_b32 v3, v18, v3, vcc_lo :: v_dual_cndmask_b32 v17, v17, v21, vcc_lo
	v_cmp_ne_u32_e32 vcc_lo, 0, v19
	s_delay_alu instid0(VALU_DEP_2) | instskip(NEXT) | instid1(VALU_DEP_1)
	v_dual_cndmask_b32 v3, v15, v3 :: v_dual_cndmask_b32 v14, v14, v17
	v_xor_b32_e32 v15, v3, v10
	s_delay_alu instid0(VALU_DEP_2) | instskip(NEXT) | instid1(VALU_DEP_1)
	v_xor_b32_e32 v14, v14, v10
	v_sub_nc_u64_e32 v[10:11], v[14:15], v[10:11]
                                        ; implicit-def: $vgpr14_vgpr15
.LBB1_17:                               ;   in Loop: Header=BB1_3 Depth=1
	s_and_not1_saveexec_b32 s0, s55
	s_cbranch_execz .LBB1_19
; %bb.18:                               ;   in Loop: Header=BB1_3 Depth=1
	v_cvt_f32_u32_e32 v3, s10
	s_sub_co_i32 s34, 0, s10
	v_mov_b32_e32 v11, v2
	s_delay_alu instid0(VALU_DEP_2) | instskip(SKIP_1) | instid1(TRANS32_DEP_1)
	v_rcp_iflag_f32_e32 v3, v3
	v_nop
	v_mul_f32_e32 v3, 0x4f7ffffe, v3
	s_delay_alu instid0(VALU_DEP_1) | instskip(NEXT) | instid1(VALU_DEP_1)
	v_cvt_u32_f32_e32 v3, v3
	v_mul_lo_u32 v10, s34, v3
	s_delay_alu instid0(VALU_DEP_1) | instskip(NEXT) | instid1(VALU_DEP_1)
	v_mul_hi_u32 v10, v3, v10
	v_add_nc_u32_e32 v3, v3, v10
	s_delay_alu instid0(VALU_DEP_1) | instskip(NEXT) | instid1(VALU_DEP_1)
	v_mul_hi_u32 v3, v14, v3
	v_mul_lo_u32 v3, v3, s10
	s_delay_alu instid0(VALU_DEP_1) | instskip(NEXT) | instid1(VALU_DEP_1)
	v_sub_nc_u32_e32 v3, v14, v3
	v_subrev_nc_u32_e32 v10, s10, v3
	v_cmp_le_u32_e32 vcc_lo, s10, v3
	s_delay_alu instid0(VALU_DEP_2) | instskip(NEXT) | instid1(VALU_DEP_1)
	v_cndmask_b32_e32 v3, v3, v10, vcc_lo
	v_subrev_nc_u32_e32 v10, s10, v3
	v_cmp_le_u32_e32 vcc_lo, s10, v3
	s_delay_alu instid0(VALU_DEP_2)
	v_cndmask_b32_e32 v10, v3, v10, vcc_lo
.LBB1_19:                               ;   in Loop: Header=BB1_3 Depth=1
	s_or_b32 exec_lo, exec_lo, s0
	v_mul_u64_e32 v[8:9], s[4:5], v[8:9]
	v_mul_u64_e32 v[14:15], s[22:23], v[12:13]
	s_delay_alu instid0(VALU_DEP_3) | instskip(SKIP_4) | instid1(VALU_DEP_4)
	v_mul_u64_e32 v[18:19], s[24:25], v[10:11]
	v_mov_b32_e32 v3, 0
	s_mov_b32 s34, -1
	s_mov_b32 s56, -1
	s_mov_b32 s55, exec_lo
	v_sub_nc_u64_e32 v[6:7], v[6:7], v[8:9]
	s_delay_alu instid0(VALU_DEP_1) | instskip(NEXT) | instid1(VALU_DEP_1)
	v_mul_u64_e32 v[8:9], s[20:21], v[6:7]
	v_lshl_add_u64 v[8:9], v[8:9], 3, s[42:43]
	s_delay_alu instid0(VALU_DEP_1) | instskip(NEXT) | instid1(VALU_DEP_1)
	v_lshl_add_u64 v[8:9], v[14:15], 3, v[8:9]
	v_lshl_add_u64 v[8:9], v[18:19], 3, v[8:9]
	global_load_b64 v[8:9], v[8:9], off
	s_wait_loadcnt 0x0
	s_wait_xcnt 0x0
	v_cmpx_ne_u64_e64 s[30:31], v[8:9]
	s_cbranch_execz .LBB1_26
; %bb.20:                               ;   in Loop: Header=BB1_3 Depth=1
	v_cmp_lt_i64_e32 vcc_lo, -1, v[8:9]
	v_cmp_gt_i64_e64 s0, s[6:7], v[8:9]
	v_mov_b32_e32 v3, 0
	s_mov_b32 s56, 0
	s_and_b32 s57, vcc_lo, s0
	s_delay_alu instid0(SALU_CYCLE_1)
	s_and_saveexec_b32 s0, s57
	s_cbranch_execz .LBB1_25
; %bb.21:                               ;   in Loop: Header=BB1_3 Depth=1
	v_mul_u64_e32 v[14:15], s[12:13], v[6:7]
	v_mul_u64_e32 v[18:19], s[14:15], v[8:9]
	;; [unrolled: 1-line block ×4, first 2 shown]
	s_and_not1_b32 vcc_lo, exec_lo, s1
	s_delay_alu instid0(VALU_DEP_4) | instskip(NEXT) | instid1(VALU_DEP_1)
	v_lshl_add_u64 v[14:15], v[14:15], 2, s[40:41]
	v_lshl_add_u64 v[14:15], v[18:19], 2, v[14:15]
	s_delay_alu instid0(VALU_DEP_1) | instskip(NEXT) | instid1(VALU_DEP_1)
	v_lshl_add_u64 v[14:15], v[20:21], 2, v[14:15]
	v_lshl_add_u64 v[14:15], v[22:23], 2, v[14:15]
	global_load_b32 v3, v[14:15], off
	s_cbranch_vccnz .LBB1_23
; %bb.22:                               ;   in Loop: Header=BB1_3 Depth=1
	v_lshl_add_u64 v[8:9], v[8:9], 2, s[28:29]
	global_load_b32 v8, v[8:9], off
	s_branch .LBB1_24
.LBB1_23:                               ;   in Loop: Header=BB1_3 Depth=1
	v_mov_b32_e32 v8, 1.0
.LBB1_24:                               ;   in Loop: Header=BB1_3 Depth=1
	s_mov_b32 s56, exec_lo
	s_wait_loadcnt 0x0
	s_delay_alu instid0(VALU_DEP_1)
	v_mul_f32_e64 v3, v8, -v3
.LBB1_25:                               ;   in Loop: Header=BB1_3 Depth=1
	s_wait_xcnt 0x0
	s_or_b32 exec_lo, exec_lo, s0
	s_delay_alu instid0(SALU_CYCLE_1)
	s_or_not1_b32 s56, s56, exec_lo
.LBB1_26:                               ;   in Loop: Header=BB1_3 Depth=1
	s_or_b32 exec_lo, exec_lo, s55
	s_delay_alu instid0(SALU_CYCLE_1)
	s_or_b32 s61, s61, exec_lo
	s_and_saveexec_b32 s0, s56
	s_cbranch_execz .LBB1_2
; %bb.27:                               ;   in Loop: Header=BB1_3 Depth=1
	v_mul_u64_e32 v[6:7], s[36:37], v[6:7]
	v_mul_u64_e32 v[8:9], s[38:39], v[12:13]
	;; [unrolled: 1-line block ×3, first 2 shown]
	v_add_nc_u64_e32 v[0:1], s[46:47], v[0:1]
	v_add_nc_u64_e32 v[4:5], s[48:49], v[4:5]
	s_and_not1_b32 s61, s61, exec_lo
	s_delay_alu instid0(VALU_DEP_2) | instskip(SKIP_2) | instid1(VALU_DEP_1)
	v_cmp_le_i64_e32 vcc_lo, s[2:3], v[0:1]
	s_or_not1_b32 s34, vcc_lo, exec_lo
	v_lshl_add_u64 v[6:7], v[6:7], 2, s[26:27]
	v_lshl_add_u64 v[6:7], v[8:9], 2, v[6:7]
	s_delay_alu instid0(VALU_DEP_1)
	v_lshl_add_u64 v[6:7], v[10:11], 2, v[6:7]
	global_store_b32 v[6:7], v3, off
	s_branch .LBB1_2
.LBB1_28:
	s_or_b32 exec_lo, exec_lo, s33
	s_and_saveexec_b32 s0, s60
	s_delay_alu instid0(SALU_CYCLE_1)
	s_xor_b32 s0, exec_lo, s0
	s_cbranch_execnz .LBB1_30
.LBB1_29:
	s_endpgm
.LBB1_30:
	s_trap 2
	; divergent unreachable
	s_endpgm
	.section	.rodata,"a",@progbits
	.p2align	6, 0x0
	.amdhsa_kernel _ZN2at6native12_GLOBAL__N_135nll_loss2d_forward_no_reduce_kernelIfEEvlN5torch10headeronly6detail27GenericPackedTensorAccessorINS5_14TensorAccessorIN3c108ArrayRefIlEET_Lm3ENS4_16DefaultPtrTraitsElEENS_6detail16IndexBoundsCheckILm4ElEESB_Lm4ESC_lEENS6_INS7_ISA_lLm2ESC_lEENSF_ILm3ElEElLm3ESC_lEENS6_INS7_ISA_SB_Lm2ESC_lEESJ_SB_Lm3ESC_lEEPKSB_l
		.amdhsa_group_segment_fixed_size 0
		.amdhsa_private_segment_fixed_size 0
		.amdhsa_kernarg_size 464
		.amdhsa_user_sgpr_count 2
		.amdhsa_user_sgpr_dispatch_ptr 0
		.amdhsa_user_sgpr_queue_ptr 0
		.amdhsa_user_sgpr_kernarg_segment_ptr 1
		.amdhsa_user_sgpr_dispatch_id 0
		.amdhsa_user_sgpr_kernarg_preload_length 0
		.amdhsa_user_sgpr_kernarg_preload_offset 0
		.amdhsa_user_sgpr_private_segment_size 0
		.amdhsa_wavefront_size32 1
		.amdhsa_uses_dynamic_stack 0
		.amdhsa_enable_private_segment 0
		.amdhsa_system_sgpr_workgroup_id_x 1
		.amdhsa_system_sgpr_workgroup_id_y 0
		.amdhsa_system_sgpr_workgroup_id_z 0
		.amdhsa_system_sgpr_workgroup_info 0
		.amdhsa_system_vgpr_workitem_id 0
		.amdhsa_next_free_vgpr 28
		.amdhsa_next_free_sgpr 71
		.amdhsa_named_barrier_count 0
		.amdhsa_reserve_vcc 1
		.amdhsa_float_round_mode_32 0
		.amdhsa_float_round_mode_16_64 0
		.amdhsa_float_denorm_mode_32 3
		.amdhsa_float_denorm_mode_16_64 3
		.amdhsa_fp16_overflow 0
		.amdhsa_memory_ordered 1
		.amdhsa_forward_progress 1
		.amdhsa_inst_pref_size 29
		.amdhsa_round_robin_scheduling 0
		.amdhsa_exception_fp_ieee_invalid_op 0
		.amdhsa_exception_fp_denorm_src 0
		.amdhsa_exception_fp_ieee_div_zero 0
		.amdhsa_exception_fp_ieee_overflow 0
		.amdhsa_exception_fp_ieee_underflow 0
		.amdhsa_exception_fp_ieee_inexact 0
		.amdhsa_exception_int_div_zero 0
	.end_amdhsa_kernel
	.section	.text._ZN2at6native12_GLOBAL__N_135nll_loss2d_forward_no_reduce_kernelIfEEvlN5torch10headeronly6detail27GenericPackedTensorAccessorINS5_14TensorAccessorIN3c108ArrayRefIlEET_Lm3ENS4_16DefaultPtrTraitsElEENS_6detail16IndexBoundsCheckILm4ElEESB_Lm4ESC_lEENS6_INS7_ISA_lLm2ESC_lEENSF_ILm3ElEElLm3ESC_lEENS6_INS7_ISA_SB_Lm2ESC_lEESJ_SB_Lm3ESC_lEEPKSB_l,"axG",@progbits,_ZN2at6native12_GLOBAL__N_135nll_loss2d_forward_no_reduce_kernelIfEEvlN5torch10headeronly6detail27GenericPackedTensorAccessorINS5_14TensorAccessorIN3c108ArrayRefIlEET_Lm3ENS4_16DefaultPtrTraitsElEENS_6detail16IndexBoundsCheckILm4ElEESB_Lm4ESC_lEENS6_INS7_ISA_lLm2ESC_lEENSF_ILm3ElEElLm3ESC_lEENS6_INS7_ISA_SB_Lm2ESC_lEESJ_SB_Lm3ESC_lEEPKSB_l,comdat
.Lfunc_end1:
	.size	_ZN2at6native12_GLOBAL__N_135nll_loss2d_forward_no_reduce_kernelIfEEvlN5torch10headeronly6detail27GenericPackedTensorAccessorINS5_14TensorAccessorIN3c108ArrayRefIlEET_Lm3ENS4_16DefaultPtrTraitsElEENS_6detail16IndexBoundsCheckILm4ElEESB_Lm4ESC_lEENS6_INS7_ISA_lLm2ESC_lEENSF_ILm3ElEElLm3ESC_lEENS6_INS7_ISA_SB_Lm2ESC_lEESJ_SB_Lm3ESC_lEEPKSB_l, .Lfunc_end1-_ZN2at6native12_GLOBAL__N_135nll_loss2d_forward_no_reduce_kernelIfEEvlN5torch10headeronly6detail27GenericPackedTensorAccessorINS5_14TensorAccessorIN3c108ArrayRefIlEET_Lm3ENS4_16DefaultPtrTraitsElEENS_6detail16IndexBoundsCheckILm4ElEESB_Lm4ESC_lEENS6_INS7_ISA_lLm2ESC_lEENSF_ILm3ElEElLm3ESC_lEENS6_INS7_ISA_SB_Lm2ESC_lEESJ_SB_Lm3ESC_lEEPKSB_l
                                        ; -- End function
	.set _ZN2at6native12_GLOBAL__N_135nll_loss2d_forward_no_reduce_kernelIfEEvlN5torch10headeronly6detail27GenericPackedTensorAccessorINS5_14TensorAccessorIN3c108ArrayRefIlEET_Lm3ENS4_16DefaultPtrTraitsElEENS_6detail16IndexBoundsCheckILm4ElEESB_Lm4ESC_lEENS6_INS7_ISA_lLm2ESC_lEENSF_ILm3ElEElLm3ESC_lEENS6_INS7_ISA_SB_Lm2ESC_lEESJ_SB_Lm3ESC_lEEPKSB_l.num_vgpr, 28
	.set _ZN2at6native12_GLOBAL__N_135nll_loss2d_forward_no_reduce_kernelIfEEvlN5torch10headeronly6detail27GenericPackedTensorAccessorINS5_14TensorAccessorIN3c108ArrayRefIlEET_Lm3ENS4_16DefaultPtrTraitsElEENS_6detail16IndexBoundsCheckILm4ElEESB_Lm4ESC_lEENS6_INS7_ISA_lLm2ESC_lEENSF_ILm3ElEElLm3ESC_lEENS6_INS7_ISA_SB_Lm2ESC_lEESJ_SB_Lm3ESC_lEEPKSB_l.num_agpr, 0
	.set _ZN2at6native12_GLOBAL__N_135nll_loss2d_forward_no_reduce_kernelIfEEvlN5torch10headeronly6detail27GenericPackedTensorAccessorINS5_14TensorAccessorIN3c108ArrayRefIlEET_Lm3ENS4_16DefaultPtrTraitsElEENS_6detail16IndexBoundsCheckILm4ElEESB_Lm4ESC_lEENS6_INS7_ISA_lLm2ESC_lEENSF_ILm3ElEElLm3ESC_lEENS6_INS7_ISA_SB_Lm2ESC_lEESJ_SB_Lm3ESC_lEEPKSB_l.numbered_sgpr, 71
	.set _ZN2at6native12_GLOBAL__N_135nll_loss2d_forward_no_reduce_kernelIfEEvlN5torch10headeronly6detail27GenericPackedTensorAccessorINS5_14TensorAccessorIN3c108ArrayRefIlEET_Lm3ENS4_16DefaultPtrTraitsElEENS_6detail16IndexBoundsCheckILm4ElEESB_Lm4ESC_lEENS6_INS7_ISA_lLm2ESC_lEENSF_ILm3ElEElLm3ESC_lEENS6_INS7_ISA_SB_Lm2ESC_lEESJ_SB_Lm3ESC_lEEPKSB_l.num_named_barrier, 0
	.set _ZN2at6native12_GLOBAL__N_135nll_loss2d_forward_no_reduce_kernelIfEEvlN5torch10headeronly6detail27GenericPackedTensorAccessorINS5_14TensorAccessorIN3c108ArrayRefIlEET_Lm3ENS4_16DefaultPtrTraitsElEENS_6detail16IndexBoundsCheckILm4ElEESB_Lm4ESC_lEENS6_INS7_ISA_lLm2ESC_lEENSF_ILm3ElEElLm3ESC_lEENS6_INS7_ISA_SB_Lm2ESC_lEESJ_SB_Lm3ESC_lEEPKSB_l.private_seg_size, 0
	.set _ZN2at6native12_GLOBAL__N_135nll_loss2d_forward_no_reduce_kernelIfEEvlN5torch10headeronly6detail27GenericPackedTensorAccessorINS5_14TensorAccessorIN3c108ArrayRefIlEET_Lm3ENS4_16DefaultPtrTraitsElEENS_6detail16IndexBoundsCheckILm4ElEESB_Lm4ESC_lEENS6_INS7_ISA_lLm2ESC_lEENSF_ILm3ElEElLm3ESC_lEENS6_INS7_ISA_SB_Lm2ESC_lEESJ_SB_Lm3ESC_lEEPKSB_l.uses_vcc, 1
	.set _ZN2at6native12_GLOBAL__N_135nll_loss2d_forward_no_reduce_kernelIfEEvlN5torch10headeronly6detail27GenericPackedTensorAccessorINS5_14TensorAccessorIN3c108ArrayRefIlEET_Lm3ENS4_16DefaultPtrTraitsElEENS_6detail16IndexBoundsCheckILm4ElEESB_Lm4ESC_lEENS6_INS7_ISA_lLm2ESC_lEENSF_ILm3ElEElLm3ESC_lEENS6_INS7_ISA_SB_Lm2ESC_lEESJ_SB_Lm3ESC_lEEPKSB_l.uses_flat_scratch, 0
	.set _ZN2at6native12_GLOBAL__N_135nll_loss2d_forward_no_reduce_kernelIfEEvlN5torch10headeronly6detail27GenericPackedTensorAccessorINS5_14TensorAccessorIN3c108ArrayRefIlEET_Lm3ENS4_16DefaultPtrTraitsElEENS_6detail16IndexBoundsCheckILm4ElEESB_Lm4ESC_lEENS6_INS7_ISA_lLm2ESC_lEENSF_ILm3ElEElLm3ESC_lEENS6_INS7_ISA_SB_Lm2ESC_lEESJ_SB_Lm3ESC_lEEPKSB_l.has_dyn_sized_stack, 0
	.set _ZN2at6native12_GLOBAL__N_135nll_loss2d_forward_no_reduce_kernelIfEEvlN5torch10headeronly6detail27GenericPackedTensorAccessorINS5_14TensorAccessorIN3c108ArrayRefIlEET_Lm3ENS4_16DefaultPtrTraitsElEENS_6detail16IndexBoundsCheckILm4ElEESB_Lm4ESC_lEENS6_INS7_ISA_lLm2ESC_lEENSF_ILm3ElEElLm3ESC_lEENS6_INS7_ISA_SB_Lm2ESC_lEESJ_SB_Lm3ESC_lEEPKSB_l.has_recursion, 0
	.set _ZN2at6native12_GLOBAL__N_135nll_loss2d_forward_no_reduce_kernelIfEEvlN5torch10headeronly6detail27GenericPackedTensorAccessorINS5_14TensorAccessorIN3c108ArrayRefIlEET_Lm3ENS4_16DefaultPtrTraitsElEENS_6detail16IndexBoundsCheckILm4ElEESB_Lm4ESC_lEENS6_INS7_ISA_lLm2ESC_lEENSF_ILm3ElEElLm3ESC_lEENS6_INS7_ISA_SB_Lm2ESC_lEESJ_SB_Lm3ESC_lEEPKSB_l.has_indirect_call, 0
	.section	.AMDGPU.csdata,"",@progbits
; Kernel info:
; codeLenInByte = 3700
; TotalNumSgprs: 73
; NumVgprs: 28
; ScratchSize: 0
; MemoryBound: 0
; FloatMode: 240
; IeeeMode: 1
; LDSByteSize: 0 bytes/workgroup (compile time only)
; SGPRBlocks: 0
; VGPRBlocks: 1
; NumSGPRsForWavesPerEU: 73
; NumVGPRsForWavesPerEU: 28
; NamedBarCnt: 0
; Occupancy: 16
; WaveLimiterHint : 1
; COMPUTE_PGM_RSRC2:SCRATCH_EN: 0
; COMPUTE_PGM_RSRC2:USER_SGPR: 2
; COMPUTE_PGM_RSRC2:TRAP_HANDLER: 0
; COMPUTE_PGM_RSRC2:TGID_X_EN: 1
; COMPUTE_PGM_RSRC2:TGID_Y_EN: 0
; COMPUTE_PGM_RSRC2:TGID_Z_EN: 0
; COMPUTE_PGM_RSRC2:TIDIG_COMP_CNT: 0
	.section	.text._ZN2at6native12_GLOBAL__N_135nll_loss2d_forward_no_reduce_kernelIN3c104HalfEEEvlN5torch10headeronly6detail27GenericPackedTensorAccessorINS7_14TensorAccessorINS3_8ArrayRefIlEET_Lm3ENS6_16DefaultPtrTraitsElEENS_6detail16IndexBoundsCheckILm4ElEESC_Lm4ESD_lEENS8_INS9_ISB_lLm2ESD_lEENSG_ILm3ElEElLm3ESD_lEENS8_INS9_ISB_SC_Lm2ESD_lEESK_SC_Lm3ESD_lEEPKSC_l,"axG",@progbits,_ZN2at6native12_GLOBAL__N_135nll_loss2d_forward_no_reduce_kernelIN3c104HalfEEEvlN5torch10headeronly6detail27GenericPackedTensorAccessorINS7_14TensorAccessorINS3_8ArrayRefIlEET_Lm3ENS6_16DefaultPtrTraitsElEENS_6detail16IndexBoundsCheckILm4ElEESC_Lm4ESD_lEENS8_INS9_ISB_lLm2ESD_lEENSG_ILm3ElEElLm3ESD_lEENS8_INS9_ISB_SC_Lm2ESD_lEESK_SC_Lm3ESD_lEEPKSC_l,comdat
	.globl	_ZN2at6native12_GLOBAL__N_135nll_loss2d_forward_no_reduce_kernelIN3c104HalfEEEvlN5torch10headeronly6detail27GenericPackedTensorAccessorINS7_14TensorAccessorINS3_8ArrayRefIlEET_Lm3ENS6_16DefaultPtrTraitsElEENS_6detail16IndexBoundsCheckILm4ElEESC_Lm4ESD_lEENS8_INS9_ISB_lLm2ESD_lEENSG_ILm3ElEElLm3ESD_lEENS8_INS9_ISB_SC_Lm2ESD_lEESK_SC_Lm3ESD_lEEPKSC_l ; -- Begin function _ZN2at6native12_GLOBAL__N_135nll_loss2d_forward_no_reduce_kernelIN3c104HalfEEEvlN5torch10headeronly6detail27GenericPackedTensorAccessorINS7_14TensorAccessorINS3_8ArrayRefIlEET_Lm3ENS6_16DefaultPtrTraitsElEENS_6detail16IndexBoundsCheckILm4ElEESC_Lm4ESD_lEENS8_INS9_ISB_lLm2ESD_lEENSG_ILm3ElEElLm3ESD_lEENS8_INS9_ISB_SC_Lm2ESD_lEESK_SC_Lm3ESD_lEEPKSC_l
	.p2align	8
	.type	_ZN2at6native12_GLOBAL__N_135nll_loss2d_forward_no_reduce_kernelIN3c104HalfEEEvlN5torch10headeronly6detail27GenericPackedTensorAccessorINS7_14TensorAccessorINS3_8ArrayRefIlEET_Lm3ENS6_16DefaultPtrTraitsElEENS_6detail16IndexBoundsCheckILm4ElEESC_Lm4ESD_lEENS8_INS9_ISB_lLm2ESD_lEENSG_ILm3ElEElLm3ESD_lEENS8_INS9_ISB_SC_Lm2ESD_lEESK_SC_Lm3ESD_lEEPKSC_l,@function
_ZN2at6native12_GLOBAL__N_135nll_loss2d_forward_no_reduce_kernelIN3c104HalfEEEvlN5torch10headeronly6detail27GenericPackedTensorAccessorINS7_14TensorAccessorINS3_8ArrayRefIlEET_Lm3ENS6_16DefaultPtrTraitsElEENS_6detail16IndexBoundsCheckILm4ElEESC_Lm4ESD_lEENS8_INS9_ISB_lLm2ESD_lEENSG_ILm3ElEElLm3ESD_lEENS8_INS9_ISB_SC_Lm2ESD_lEESK_SC_Lm3ESD_lEEPKSC_l: ; @_ZN2at6native12_GLOBAL__N_135nll_loss2d_forward_no_reduce_kernelIN3c104HalfEEEvlN5torch10headeronly6detail27GenericPackedTensorAccessorINS7_14TensorAccessorINS3_8ArrayRefIlEET_Lm3ENS6_16DefaultPtrTraitsElEENS_6detail16IndexBoundsCheckILm4ElEESC_Lm4ESD_lEENS8_INS9_ISB_lLm2ESD_lEENSG_ILm3ElEElLm3ESD_lEENS8_INS9_ISB_SC_Lm2ESD_lEESK_SC_Lm3ESD_lEEPKSC_l
; %bb.0:
	s_clause 0x1
	s_load_b32 s4, s[0:1], 0xdc
	s_load_b64 s[2:3], s[0:1], 0x0
	s_bfe_u32 s5, ttmp6, 0x4000c
	v_mov_b32_e32 v2, 0
	s_add_co_i32 s5, s5, 1
	s_and_b32 s6, ttmp6, 15
	s_mul_i32 s5, ttmp9, s5
	s_getreg_b32 s7, hwreg(HW_REG_IB_STS2, 6, 4)
	v_mov_b32_e32 v1, v2
	s_add_co_i32 s6, s6, s5
	s_mov_b32 s35, 0
	s_wait_kmcnt 0x0
	s_and_b32 s33, s4, 0xffff
	s_cmp_eq_u32 s7, 0
	s_cselect_b32 s4, ttmp9, s6
	s_delay_alu instid0(SALU_CYCLE_1) | instskip(SKIP_1) | instid1(VALU_DEP_1)
	v_mad_nc_u64_u32 v[0:1], s33, s4, v[0:1]
	s_mov_b32 s4, exec_lo
	v_cmpx_gt_i64_e64 s[2:3], v[0:1]
	s_cbranch_execz .LBB2_31
; %bb.1:
	s_clause 0x1
	s_load_b256 s[4:11], s[0:1], 0x10
	s_load_b128 s[28:31], s[0:1], 0xc0
	s_add_nc_u64 s[20:21], s[0:1], 0xd0
	s_load_b32 s34, s[20:21], 0x0
	s_clause 0x2
	s_load_b64 s[40:41], s[0:1], 0x8
	s_load_b256 s[12:19], s[0:1], 0x30
	s_load_b64 s[42:43], s[0:1], 0x50
	s_wait_xcnt 0x0
	s_clause 0x2
	s_load_b256 s[20:27], s[0:1], 0x70
	s_load_b64 s[44:45], s[0:1], 0xb8
	s_load_b128 s[36:39], s[0:1], 0xa8
	s_mov_b32 s47, s35
	s_mov_b32 s48, s35
	s_mov_b64 s[50:51], 0xffffffff
                                        ; implicit-def: $sgpr60
                                        ; implicit-def: $sgpr61
	s_wait_kmcnt 0x0
	v_cvt_f32_u32_e32 v3, s4
	s_cmp_lg_u64 s[28:29], 0
	s_mul_i32 s46, s34, s33
	s_mul_u64 s[52:53], s[8:9], s[4:5]
	s_cselect_b32 s1, -1, 0
	v_rcp_iflag_f32_e32 v4, v3
	v_nop
	v_mov_b32_e32 v3, v0
	s_mov_b32 s49, s46
	s_ashr_i32 s54, s5, 31
	s_mov_b32 s33, 0
	s_delay_alu instid0(TRANS32_DEP_1) | instskip(NEXT) | instid1(VALU_DEP_1)
	v_mul_f32_e32 v4, 0x4f7ffffe, v4
	v_cvt_u32_f32_e32 v16, v4
	v_mov_b64_e32 v[4:5], v[2:3]
	s_branch .LBB2_3
.LBB2_2:                                ;   in Loop: Header=BB2_3 Depth=1
	s_or_b32 exec_lo, exec_lo, s55
	s_delay_alu instid0(SALU_CYCLE_1) | instskip(NEXT) | instid1(SALU_CYCLE_1)
	s_and_b32 s0, exec_lo, s34
	s_or_b32 s33, s0, s33
	s_and_not1_b32 s0, s60, exec_lo
	s_and_b32 s34, s61, exec_lo
	s_delay_alu instid0(SALU_CYCLE_1)
	s_or_b32 s60, s0, s34
	s_and_not1_b32 exec_lo, exec_lo, s33
	s_cbranch_execz .LBB2_30
.LBB2_3:                                ; =>This Inner Loop Header: Depth=1
	s_delay_alu instid0(VALU_DEP_1) | instskip(SKIP_1) | instid1(VALU_DEP_1)
	v_dual_mov_b32 v6, v5 :: v_dual_ashrrev_i32 v7, 31, v5
                                        ; implicit-def: $vgpr8_vgpr9
	s_mov_b32 s0, exec_lo
	v_dual_ashrrev_i32 v10, 31, v7 :: v_dual_bitop2_b32 v3, s5, v7 bitop3:0x54
	s_delay_alu instid0(VALU_DEP_1)
	v_cmpx_ne_u64_e32 0, v[2:3]
	s_xor_b32 s58, exec_lo, s0
	s_cbranch_execz .LBB2_5
; %bb.4:                                ;   in Loop: Header=BB2_3 Depth=1
	s_mov_b32 s55, s54
	v_dual_mov_b32 v11, v10 :: v_dual_mov_b32 v13, v2
	s_add_nc_u64 s[56:57], s[4:5], s[54:55]
	v_mov_b32_e32 v19, v2
	s_xor_b64 s[56:57], s[56:57], s[54:55]
	s_delay_alu instid0(VALU_DEP_2) | instskip(SKIP_4) | instid1(SALU_CYCLE_1)
	v_add_nc_u64_e32 v[8:9], v[6:7], v[10:11]
	s_cvt_f32_u32 s0, s56
	s_cvt_f32_u32 s34, s57
	s_sub_nc_u64 s[64:65], 0, s[56:57]
	v_mov_b32_e32 v23, v2
	s_fmamk_f32 s0, s34, 0x4f800000, s0
	s_delay_alu instid0(VALU_DEP_2) | instskip(SKIP_1) | instid1(SALU_CYCLE_1)
	v_xor_b32_e32 v12, v8, v10
	v_xor_b32_e32 v18, v9, v10
	v_s_rcp_f32 s0, s0
	s_delay_alu instid0(TRANS32_DEP_1) | instskip(NEXT) | instid1(SALU_CYCLE_3)
	s_mul_f32 s0, s0, 0x5f7ffffc
	s_mul_f32 s34, s0, 0x2f800000
	s_delay_alu instid0(SALU_CYCLE_3) | instskip(NEXT) | instid1(SALU_CYCLE_3)
	s_trunc_f32 s34, s34
	s_fmamk_f32 s0, s34, 0xcf800000, s0
	s_cvt_u32_f32 s63, s34
	s_delay_alu instid0(SALU_CYCLE_2) | instskip(NEXT) | instid1(SALU_CYCLE_3)
	s_cvt_u32_f32 s62, s0
	s_mul_u64 s[66:67], s[64:65], s[62:63]
	s_delay_alu instid0(SALU_CYCLE_1)
	s_mul_hi_u32 s69, s62, s67
	s_mul_i32 s68, s62, s67
	s_mul_hi_u32 s34, s62, s66
	s_mul_i32 s55, s63, s66
	s_add_nc_u64 s[68:69], s[34:35], s[68:69]
	s_mul_hi_u32 s0, s63, s66
	s_mul_hi_u32 s59, s63, s67
	s_add_co_u32 s34, s68, s55
	s_add_co_ci_u32 s34, s69, s0
	s_mul_i32 s66, s63, s67
	s_add_co_ci_u32 s67, s59, 0
	s_delay_alu instid0(SALU_CYCLE_1) | instskip(NEXT) | instid1(SALU_CYCLE_1)
	s_add_nc_u64 s[66:67], s[34:35], s[66:67]
	s_add_co_u32 s62, s62, s66
	s_cselect_b32 s0, -1, 0
	s_delay_alu instid0(SALU_CYCLE_1) | instskip(SKIP_1) | instid1(SALU_CYCLE_1)
	s_cmp_lg_u32 s0, 0
	s_add_co_ci_u32 s63, s63, s67
	s_mul_u64 s[64:65], s[64:65], s[62:63]
	s_delay_alu instid0(SALU_CYCLE_1)
	s_mul_hi_u32 s67, s62, s65
	s_mul_i32 s66, s62, s65
	s_mul_hi_u32 s34, s62, s64
	s_mul_i32 s55, s63, s64
	s_add_nc_u64 s[66:67], s[34:35], s[66:67]
	s_mul_hi_u32 s0, s63, s64
	s_mul_hi_u32 s59, s63, s65
	s_add_co_u32 s34, s66, s55
	s_add_co_ci_u32 s34, s67, s0
	s_mul_i32 s64, s63, s65
	s_add_co_ci_u32 s65, s59, 0
	s_delay_alu instid0(SALU_CYCLE_1) | instskip(NEXT) | instid1(SALU_CYCLE_1)
	s_add_nc_u64 s[64:65], s[34:35], s[64:65]
	s_add_co_u32 s0, s62, s64
	s_cselect_b32 s34, -1, 0
	v_nop
	v_mul_hi_u32 v22, v12, s0
	s_cmp_lg_u32 s34, 0
	s_add_co_ci_u32 s34, s63, s65
	s_and_b64 s[62:63], s[0:1], s[50:51]
	v_mul_u64_e32 v[14:15], s[34:35], v[12:13]
	v_mul_u64_e32 v[8:9], s[62:63], v[18:19]
	v_mul_u64_e32 v[20:21], s[34:35], v[18:19]
	s_delay_alu instid0(VALU_DEP_3) | instskip(NEXT) | instid1(VALU_DEP_1)
	v_add_nc_u64_e32 v[14:15], v[22:23], v[14:15]
	v_add_co_u32 v3, vcc_lo, v14, v8
	s_delay_alu instid0(VALU_DEP_2) | instskip(NEXT) | instid1(VALU_DEP_4)
	v_add_co_ci_u32_e32 v22, vcc_lo, v15, v9, vcc_lo
	v_add_co_ci_u32_e32 v21, vcc_lo, 0, v21, vcc_lo
	s_delay_alu instid0(VALU_DEP_1) | instskip(NEXT) | instid1(VALU_DEP_1)
	v_add_nc_u64_e32 v[8:9], v[22:23], v[20:21]
	v_mul_u64_e32 v[14:15], s[56:57], v[8:9]
	s_delay_alu instid0(VALU_DEP_1) | instskip(NEXT) | instid1(VALU_DEP_2)
	v_sub_nc_u32_e32 v3, v18, v15
	v_sub_co_u32 v11, vcc_lo, v12, v14
	s_delay_alu instid0(VALU_DEP_1) | instskip(NEXT) | instid1(VALU_DEP_3)
	v_sub_co_ci_u32_e64 v17, null, v18, v15, vcc_lo
	v_subrev_co_ci_u32_e64 v3, null, s57, v3, vcc_lo
	s_delay_alu instid0(VALU_DEP_3) | instskip(SKIP_1) | instid1(VALU_DEP_3)
	v_sub_co_u32 v12, s0, v11, s56
	v_add_nc_u64_e32 v[14:15], 1, v[8:9]
	v_subrev_co_ci_u32_e64 v3, null, 0, v3, s0
	s_delay_alu instid0(VALU_DEP_3) | instskip(SKIP_1) | instid1(VALU_DEP_3)
	v_cmp_le_u32_e32 vcc_lo, s56, v12
	v_cndmask_b32_e64 v12, 0, -1, vcc_lo
	v_cmp_le_u32_e32 vcc_lo, s57, v3
	v_cndmask_b32_e64 v13, 0, -1, vcc_lo
	;; [unrolled: 2-line block ×4, first 2 shown]
	v_cmp_eq_u32_e32 vcc_lo, s57, v3
	v_cndmask_b32_e32 v3, v13, v12, vcc_lo
	v_cmp_eq_u32_e32 vcc_lo, s57, v17
	v_add_nc_u64_e32 v[12:13], 2, v[8:9]
	v_cndmask_b32_e32 v11, v18, v11, vcc_lo
	s_delay_alu instid0(VALU_DEP_4) | instskip(NEXT) | instid1(VALU_DEP_2)
	v_cmp_ne_u32_e32 vcc_lo, 0, v3
	v_cmp_ne_u32_e64 s0, 0, v11
	s_delay_alu instid0(VALU_DEP_4) | instskip(NEXT) | instid1(VALU_DEP_1)
	v_dual_cndmask_b32 v3, v15, v13, vcc_lo :: v_dual_cndmask_b32 v11, v14, v12, vcc_lo
	v_dual_cndmask_b32 v3, v9, v3, s0 :: v_dual_bitop2_b32 v12, s54, v10 bitop3:0x14
	s_delay_alu instid0(VALU_DEP_1) | instskip(NEXT) | instid1(VALU_DEP_2)
	v_mov_b32_e32 v13, v12
	v_dual_cndmask_b32 v8, v8, v11, s0 :: v_dual_bitop2_b32 v9, v3, v12 bitop3:0x14
	s_delay_alu instid0(VALU_DEP_1) | instskip(NEXT) | instid1(VALU_DEP_1)
	v_xor_b32_e32 v8, v8, v12
	v_sub_nc_u64_e32 v[8:9], v[8:9], v[12:13]
.LBB2_5:                                ;   in Loop: Header=BB2_3 Depth=1
	s_and_not1_saveexec_b32 s0, s58
	s_cbranch_execz .LBB2_7
; %bb.6:                                ;   in Loop: Header=BB2_3 Depth=1
	s_sub_co_i32 s34, 0, s4
	s_delay_alu instid0(SALU_CYCLE_1) | instskip(NEXT) | instid1(VALU_DEP_1)
	v_mul_lo_u32 v3, s34, v16
	v_mul_hi_u32 v3, v16, v3
	s_delay_alu instid0(VALU_DEP_1) | instskip(NEXT) | instid1(VALU_DEP_1)
	v_add_nc_u32_e32 v3, v16, v3
	v_mul_hi_u32 v3, v6, v3
	s_delay_alu instid0(VALU_DEP_1) | instskip(NEXT) | instid1(VALU_DEP_1)
	v_mul_lo_u32 v8, v3, s4
	v_dual_add_nc_u32 v9, 1, v3 :: v_dual_sub_nc_u32 v8, v6, v8
	s_delay_alu instid0(VALU_DEP_1) | instskip(SKIP_1) | instid1(VALU_DEP_2)
	v_subrev_nc_u32_e32 v11, s4, v8
	v_cmp_le_u32_e32 vcc_lo, s4, v8
	v_dual_cndmask_b32 v8, v8, v11 :: v_dual_cndmask_b32 v3, v3, v9
	s_delay_alu instid0(VALU_DEP_1) | instskip(NEXT) | instid1(VALU_DEP_2)
	v_cmp_le_u32_e32 vcc_lo, s4, v8
	v_add_nc_u32_e32 v9, 1, v3
	s_delay_alu instid0(VALU_DEP_1)
	v_dual_cndmask_b32 v8, v3, v9 :: v_dual_mov_b32 v9, v2
.LBB2_7:                                ;   in Loop: Header=BB2_3 Depth=1
	s_or_b32 exec_lo, exec_lo, s0
	s_delay_alu instid0(VALU_DEP_1) | instskip(SKIP_1) | instid1(VALU_DEP_1)
	v_or_b32_e32 v3, s9, v9
                                        ; implicit-def: $vgpr12_vgpr13
	s_mov_b32 s0, exec_lo
	v_cmpx_ne_u64_e32 0, v[2:3]
	s_xor_b32 s55, exec_lo, s0
	s_cbranch_execz .LBB2_9
; %bb.8:                                ;   in Loop: Header=BB2_3 Depth=1
	s_ashr_i32 s56, s9, 31
	v_dual_mov_b32 v19, v2 :: v_dual_ashrrev_i32 v12, 31, v9
	s_mov_b32 s57, s56
	v_mov_b32_e32 v27, v2
	s_add_nc_u64 s[58:59], s[8:9], s[56:57]
	s_delay_alu instid0(VALU_DEP_2) | instskip(SKIP_1) | instid1(SALU_CYCLE_1)
	v_mov_b32_e32 v13, v12
	s_xor_b64 s[56:57], s[58:59], s[56:57]
	s_cvt_f32_u32 s0, s56
	s_cvt_f32_u32 s34, s57
	s_sub_nc_u64 s[62:63], 0, s[56:57]
	v_add_nc_u64_e32 v[14:15], v[8:9], v[12:13]
	v_mov_b32_e32 v23, v2
	s_fmamk_f32 s0, s34, 0x4f800000, s0
	s_delay_alu instid0(SALU_CYCLE_3) | instskip(NEXT) | instid1(VALU_DEP_2)
	v_s_rcp_f32 s0, s0
	v_xor_b32_e32 v18, v14, v12
	s_delay_alu instid0(VALU_DEP_3) | instskip(NEXT) | instid1(TRANS32_DEP_1)
	v_xor_b32_e32 v22, v15, v12
	s_mul_f32 s0, s0, 0x5f7ffffc
	s_delay_alu instid0(SALU_CYCLE_3) | instskip(NEXT) | instid1(SALU_CYCLE_3)
	s_mul_f32 s34, s0, 0x2f800000
	s_trunc_f32 s34, s34
	s_delay_alu instid0(SALU_CYCLE_3) | instskip(SKIP_1) | instid1(SALU_CYCLE_2)
	s_fmamk_f32 s0, s34, 0xcf800000, s0
	s_cvt_u32_f32 s59, s34
	s_cvt_u32_f32 s58, s0
	s_delay_alu instid0(SALU_CYCLE_3) | instskip(NEXT) | instid1(SALU_CYCLE_1)
	s_mul_u64 s[64:65], s[62:63], s[58:59]
	s_mul_hi_u32 s67, s58, s65
	s_mul_i32 s66, s58, s65
	s_mul_hi_u32 s34, s58, s64
	s_mul_i32 s68, s59, s64
	s_add_nc_u64 s[66:67], s[34:35], s[66:67]
	s_mul_hi_u32 s0, s59, s64
	s_mul_hi_u32 s69, s59, s65
	s_add_co_u32 s34, s66, s68
	s_add_co_ci_u32 s34, s67, s0
	s_mul_i32 s64, s59, s65
	s_add_co_ci_u32 s65, s69, 0
	s_delay_alu instid0(SALU_CYCLE_1) | instskip(NEXT) | instid1(SALU_CYCLE_1)
	s_add_nc_u64 s[64:65], s[34:35], s[64:65]
	s_add_co_u32 s58, s58, s64
	s_cselect_b32 s0, -1, 0
	s_delay_alu instid0(SALU_CYCLE_1) | instskip(SKIP_1) | instid1(SALU_CYCLE_1)
	s_cmp_lg_u32 s0, 0
	s_add_co_ci_u32 s59, s59, s65
	s_mul_u64 s[62:63], s[62:63], s[58:59]
	s_delay_alu instid0(SALU_CYCLE_1)
	s_mul_hi_u32 s65, s58, s63
	s_mul_i32 s64, s58, s63
	s_mul_hi_u32 s34, s58, s62
	s_mul_i32 s66, s59, s62
	s_add_nc_u64 s[64:65], s[34:35], s[64:65]
	s_mul_hi_u32 s0, s59, s62
	s_mul_hi_u32 s67, s59, s63
	s_add_co_u32 s34, s64, s66
	s_add_co_ci_u32 s34, s65, s0
	s_mul_i32 s62, s59, s63
	s_add_co_ci_u32 s63, s67, 0
	s_delay_alu instid0(SALU_CYCLE_1) | instskip(NEXT) | instid1(SALU_CYCLE_1)
	s_add_nc_u64 s[62:63], s[34:35], s[62:63]
	s_add_co_u32 s0, s58, s62
	s_cselect_b32 s34, -1, 0
	v_mul_hi_u32 v26, v18, s0
	s_cmp_lg_u32 s34, 0
	s_add_co_ci_u32 s34, s59, s63
	s_and_b64 s[58:59], s[0:1], s[50:51]
	v_mul_u64_e32 v[20:21], s[34:35], v[18:19]
	v_mul_u64_e32 v[14:15], s[58:59], v[22:23]
	v_mul_u64_e32 v[24:25], s[34:35], v[22:23]
	s_delay_alu instid0(VALU_DEP_3) | instskip(NEXT) | instid1(VALU_DEP_1)
	v_add_nc_u64_e32 v[20:21], v[26:27], v[20:21]
	v_add_co_u32 v3, vcc_lo, v20, v14
	s_delay_alu instid0(VALU_DEP_2) | instskip(NEXT) | instid1(VALU_DEP_4)
	v_add_co_ci_u32_e32 v26, vcc_lo, v21, v15, vcc_lo
	v_add_co_ci_u32_e32 v25, vcc_lo, 0, v25, vcc_lo
	s_delay_alu instid0(VALU_DEP_1) | instskip(NEXT) | instid1(VALU_DEP_1)
	v_add_nc_u64_e32 v[14:15], v[26:27], v[24:25]
	v_mul_u64_e32 v[14:15], s[56:57], v[14:15]
	s_delay_alu instid0(VALU_DEP_1) | instskip(NEXT) | instid1(VALU_DEP_1)
	v_sub_co_u32 v11, vcc_lo, v18, v14
	v_sub_co_ci_u32_e64 v14, null, v22, v15, vcc_lo
	s_delay_alu instid0(VALU_DEP_2) | instskip(NEXT) | instid1(VALU_DEP_1)
	v_cmp_le_u32_e64 s0, s56, v11
	v_cndmask_b32_e64 v18, 0, -1, s0
	v_sub_nc_u32_e32 v3, v22, v15
	s_delay_alu instid0(VALU_DEP_1) | instskip(SKIP_1) | instid1(VALU_DEP_1)
	v_subrev_co_ci_u32_e64 v3, null, s57, v3, vcc_lo
	v_sub_co_u32 v15, vcc_lo, v11, s56
	v_subrev_co_ci_u32_e64 v17, null, 0, v3, vcc_lo
	s_delay_alu instid0(VALU_DEP_2) | instskip(SKIP_2) | instid1(VALU_DEP_3)
	v_cmp_le_u32_e64 s0, s56, v15
	v_subrev_co_ci_u32_e64 v3, null, s57, v3, vcc_lo
	v_cmp_le_u32_e32 vcc_lo, s57, v14
	v_cndmask_b32_e64 v19, 0, -1, s0
	v_cmp_le_u32_e64 s0, s57, v17
	v_cndmask_b32_e64 v21, 0, -1, vcc_lo
	v_cmp_eq_u32_e32 vcc_lo, s57, v17
	s_delay_alu instid0(VALU_DEP_3) | instskip(SKIP_1) | instid1(VALU_DEP_2)
	v_cndmask_b32_e64 v20, 0, -1, s0
	v_cmp_eq_u32_e64 s0, s57, v14
	v_cndmask_b32_e32 v19, v20, v19, vcc_lo
	v_sub_co_u32 v20, vcc_lo, v15, s56
	s_delay_alu instid0(VALU_DEP_1) | instskip(NEXT) | instid1(VALU_DEP_3)
	v_subrev_co_ci_u32_e64 v3, null, 0, v3, vcc_lo
	v_cmp_ne_u32_e32 vcc_lo, 0, v19
	v_cndmask_b32_e64 v18, v21, v18, s0
	s_delay_alu instid0(VALU_DEP_3) | instskip(NEXT) | instid1(VALU_DEP_2)
	v_dual_cndmask_b32 v3, v17, v3, vcc_lo :: v_dual_cndmask_b32 v15, v15, v20, vcc_lo
	v_cmp_ne_u32_e32 vcc_lo, 0, v18
	s_delay_alu instid0(VALU_DEP_2) | instskip(NEXT) | instid1(VALU_DEP_1)
	v_cndmask_b32_e32 v11, v11, v15, vcc_lo
	v_dual_cndmask_b32 v3, v14, v3, vcc_lo :: v_dual_bitop2_b32 v14, v11, v12 bitop3:0x14
	s_delay_alu instid0(VALU_DEP_1) | instskip(NEXT) | instid1(VALU_DEP_1)
	v_xor_b32_e32 v15, v3, v12
	v_sub_nc_u64_e32 v[12:13], v[14:15], v[12:13]
.LBB2_9:                                ;   in Loop: Header=BB2_3 Depth=1
	s_and_not1_saveexec_b32 s0, s55
	s_cbranch_execz .LBB2_11
; %bb.10:                               ;   in Loop: Header=BB2_3 Depth=1
	v_cvt_f32_u32_e32 v3, s8
	s_sub_co_i32 s34, 0, s8
	v_mov_b32_e32 v13, v2
	s_delay_alu instid0(VALU_DEP_2) | instskip(SKIP_1) | instid1(TRANS32_DEP_1)
	v_rcp_iflag_f32_e32 v3, v3
	v_nop
	v_mul_f32_e32 v3, 0x4f7ffffe, v3
	s_delay_alu instid0(VALU_DEP_1) | instskip(NEXT) | instid1(VALU_DEP_1)
	v_cvt_u32_f32_e32 v3, v3
	v_mul_lo_u32 v11, s34, v3
	s_delay_alu instid0(VALU_DEP_1) | instskip(NEXT) | instid1(VALU_DEP_1)
	v_mul_hi_u32 v11, v3, v11
	v_add_nc_u32_e32 v3, v3, v11
	s_delay_alu instid0(VALU_DEP_1) | instskip(NEXT) | instid1(VALU_DEP_1)
	v_mul_hi_u32 v3, v8, v3
	v_mul_lo_u32 v3, v3, s8
	s_delay_alu instid0(VALU_DEP_1) | instskip(NEXT) | instid1(VALU_DEP_1)
	v_sub_nc_u32_e32 v3, v8, v3
	v_subrev_nc_u32_e32 v11, s8, v3
	v_cmp_le_u32_e32 vcc_lo, s8, v3
	s_delay_alu instid0(VALU_DEP_2) | instskip(NEXT) | instid1(VALU_DEP_1)
	v_cndmask_b32_e32 v3, v3, v11, vcc_lo
	v_subrev_nc_u32_e32 v11, s8, v3
	v_cmp_le_u32_e32 vcc_lo, s8, v3
	s_delay_alu instid0(VALU_DEP_2)
	v_cndmask_b32_e32 v12, v3, v11, vcc_lo
.LBB2_11:                               ;   in Loop: Header=BB2_3 Depth=1
	s_or_b32 exec_lo, exec_lo, s0
	v_or_b32_e32 v3, s53, v7
                                        ; implicit-def: $vgpr14_vgpr15
	s_mov_b32 s0, exec_lo
	s_delay_alu instid0(VALU_DEP_1)
	v_cmpx_ne_u64_e32 0, v[2:3]
	s_xor_b32 s55, exec_lo, s0
	s_cbranch_execz .LBB2_13
; %bb.12:                               ;   in Loop: Header=BB2_3 Depth=1
	s_ashr_i32 s56, s53, 31
	v_dual_mov_b32 v11, v10 :: v_dual_mov_b32 v19, v2
	s_mov_b32 s57, s56
	v_mov_b32_e32 v27, v2
	s_add_nc_u64 s[58:59], s[52:53], s[56:57]
	s_delay_alu instid0(VALU_DEP_2)
	v_add_nc_u64_e32 v[14:15], v[6:7], v[10:11]
	s_xor_b64 s[58:59], s[58:59], s[56:57]
	v_mov_b32_e32 v23, v2
	s_cvt_f32_u32 s0, s58
	s_cvt_f32_u32 s34, s59
	s_sub_nc_u64 s[64:65], 0, s[58:59]
	s_delay_alu instid0(VALU_DEP_2) | instskip(NEXT) | instid1(SALU_CYCLE_1)
	v_xor_b32_e32 v18, v14, v10
	s_fmamk_f32 s0, s34, 0x4f800000, s0
	v_xor_b32_e32 v22, v15, v10
	v_xor_b32_e32 v10, s56, v10
	s_delay_alu instid0(SALU_CYCLE_1) | instskip(NEXT) | instid1(TRANS32_DEP_1)
	v_s_rcp_f32 s0, s0
	s_mul_f32 s0, s0, 0x5f7ffffc
	s_delay_alu instid0(SALU_CYCLE_3) | instskip(NEXT) | instid1(SALU_CYCLE_3)
	s_mul_f32 s34, s0, 0x2f800000
	s_trunc_f32 s34, s34
	s_delay_alu instid0(SALU_CYCLE_3) | instskip(SKIP_1) | instid1(SALU_CYCLE_2)
	s_fmamk_f32 s0, s34, 0xcf800000, s0
	s_cvt_u32_f32 s63, s34
	s_cvt_u32_f32 s62, s0
	s_delay_alu instid0(SALU_CYCLE_3) | instskip(NEXT) | instid1(SALU_CYCLE_1)
	s_mul_u64 s[66:67], s[64:65], s[62:63]
	s_mul_hi_u32 s69, s62, s67
	s_mul_i32 s68, s62, s67
	s_mul_hi_u32 s34, s62, s66
	s_mul_i32 s57, s63, s66
	s_add_nc_u64 s[68:69], s[34:35], s[68:69]
	s_mul_hi_u32 s0, s63, s66
	s_mul_hi_u32 s70, s63, s67
	s_add_co_u32 s34, s68, s57
	s_add_co_ci_u32 s34, s69, s0
	s_mul_i32 s66, s63, s67
	s_add_co_ci_u32 s67, s70, 0
	s_delay_alu instid0(SALU_CYCLE_1) | instskip(NEXT) | instid1(SALU_CYCLE_1)
	s_add_nc_u64 s[66:67], s[34:35], s[66:67]
	s_add_co_u32 s62, s62, s66
	s_cselect_b32 s0, -1, 0
	s_delay_alu instid0(SALU_CYCLE_1) | instskip(SKIP_1) | instid1(SALU_CYCLE_1)
	s_cmp_lg_u32 s0, 0
	s_add_co_ci_u32 s63, s63, s67
	s_mul_u64 s[64:65], s[64:65], s[62:63]
	s_delay_alu instid0(SALU_CYCLE_1)
	s_mul_hi_u32 s67, s62, s65
	s_mul_i32 s66, s62, s65
	s_mul_hi_u32 s34, s62, s64
	s_mul_i32 s57, s63, s64
	s_add_nc_u64 s[66:67], s[34:35], s[66:67]
	s_mul_hi_u32 s0, s63, s64
	s_mul_hi_u32 s68, s63, s65
	s_add_co_u32 s34, s66, s57
	s_add_co_ci_u32 s34, s67, s0
	s_mul_i32 s64, s63, s65
	s_add_co_ci_u32 s65, s68, 0
	s_delay_alu instid0(SALU_CYCLE_1) | instskip(NEXT) | instid1(SALU_CYCLE_1)
	s_add_nc_u64 s[64:65], s[34:35], s[64:65]
	s_add_co_u32 s0, s62, s64
	s_cselect_b32 s34, -1, 0
	v_nop
	v_mul_hi_u32 v26, v18, s0
	s_cmp_lg_u32 s34, 0
	s_add_co_ci_u32 s34, s63, s65
	s_and_b64 s[62:63], s[0:1], s[50:51]
	v_mul_u64_e32 v[20:21], s[34:35], v[18:19]
	v_mul_u64_e32 v[14:15], s[62:63], v[22:23]
	;; [unrolled: 1-line block ×3, first 2 shown]
	s_delay_alu instid0(VALU_DEP_3) | instskip(NEXT) | instid1(VALU_DEP_1)
	v_add_nc_u64_e32 v[20:21], v[26:27], v[20:21]
	v_add_co_u32 v3, vcc_lo, v20, v14
	s_delay_alu instid0(VALU_DEP_2) | instskip(NEXT) | instid1(VALU_DEP_4)
	v_add_co_ci_u32_e32 v26, vcc_lo, v21, v15, vcc_lo
	v_add_co_ci_u32_e32 v25, vcc_lo, 0, v25, vcc_lo
	s_delay_alu instid0(VALU_DEP_1) | instskip(NEXT) | instid1(VALU_DEP_1)
	v_add_nc_u64_e32 v[14:15], v[26:27], v[24:25]
	v_mul_u64_e32 v[20:21], s[58:59], v[14:15]
	s_delay_alu instid0(VALU_DEP_1) | instskip(NEXT) | instid1(VALU_DEP_2)
	v_sub_nc_u32_e32 v3, v22, v21
	v_sub_co_u32 v11, vcc_lo, v18, v20
	s_delay_alu instid0(VALU_DEP_1) | instskip(NEXT) | instid1(VALU_DEP_3)
	v_sub_co_ci_u32_e64 v22, null, v22, v21, vcc_lo
	v_subrev_co_ci_u32_e64 v3, null, s59, v3, vcc_lo
	s_delay_alu instid0(VALU_DEP_3) | instskip(SKIP_1) | instid1(VALU_DEP_3)
	v_sub_co_u32 v17, s0, v11, s58
	v_add_nc_u64_e32 v[20:21], 1, v[14:15]
	v_subrev_co_ci_u32_e64 v3, null, 0, v3, s0
	s_delay_alu instid0(VALU_DEP_3) | instskip(SKIP_1) | instid1(VALU_DEP_3)
	v_cmp_le_u32_e32 vcc_lo, s58, v17
	v_cndmask_b32_e64 v17, 0, -1, vcc_lo
	v_cmp_le_u32_e32 vcc_lo, s59, v3
	v_cndmask_b32_e64 v18, 0, -1, vcc_lo
	;; [unrolled: 2-line block ×4, first 2 shown]
	v_cmp_eq_u32_e32 vcc_lo, s59, v3
	v_cndmask_b32_e32 v3, v18, v17, vcc_lo
	v_cmp_eq_u32_e32 vcc_lo, s59, v22
	v_add_nc_u64_e32 v[18:19], 2, v[14:15]
	v_cndmask_b32_e32 v11, v23, v11, vcc_lo
	s_delay_alu instid0(VALU_DEP_4) | instskip(NEXT) | instid1(VALU_DEP_2)
	v_cmp_ne_u32_e32 vcc_lo, 0, v3
	v_cmp_ne_u32_e64 s0, 0, v11
	s_delay_alu instid0(VALU_DEP_4) | instskip(NEXT) | instid1(VALU_DEP_1)
	v_dual_cndmask_b32 v3, v21, v19, vcc_lo :: v_dual_cndmask_b32 v11, v20, v18, vcc_lo
	v_cndmask_b32_e64 v3, v15, v3, s0
	s_delay_alu instid0(VALU_DEP_2) | instskip(NEXT) | instid1(VALU_DEP_2)
	v_cndmask_b32_e64 v14, v14, v11, s0
	v_dual_mov_b32 v11, v10 :: v_dual_bitop2_b32 v15, v3, v10 bitop3:0x14
	s_delay_alu instid0(VALU_DEP_2) | instskip(NEXT) | instid1(VALU_DEP_1)
	v_xor_b32_e32 v14, v14, v10
	v_sub_nc_u64_e32 v[14:15], v[14:15], v[10:11]
.LBB2_13:                               ;   in Loop: Header=BB2_3 Depth=1
	s_and_not1_saveexec_b32 s0, s55
	s_cbranch_execz .LBB2_15
; %bb.14:                               ;   in Loop: Header=BB2_3 Depth=1
	v_cvt_f32_u32_e32 v3, s52
	s_sub_co_i32 s34, 0, s52
	v_mov_b32_e32 v15, v2
	s_delay_alu instid0(VALU_DEP_2) | instskip(SKIP_1) | instid1(TRANS32_DEP_1)
	v_rcp_iflag_f32_e32 v3, v3
	v_nop
	v_mul_f32_e32 v3, 0x4f7ffffe, v3
	s_delay_alu instid0(VALU_DEP_1) | instskip(NEXT) | instid1(VALU_DEP_1)
	v_cvt_u32_f32_e32 v3, v3
	v_mul_lo_u32 v10, s34, v3
	s_delay_alu instid0(VALU_DEP_1) | instskip(NEXT) | instid1(VALU_DEP_1)
	v_mul_hi_u32 v10, v3, v10
	v_add_nc_u32_e32 v3, v3, v10
	s_delay_alu instid0(VALU_DEP_1) | instskip(NEXT) | instid1(VALU_DEP_1)
	v_mul_hi_u32 v3, v5, v3
	v_mul_lo_u32 v10, v3, s52
	s_delay_alu instid0(VALU_DEP_1) | instskip(NEXT) | instid1(VALU_DEP_1)
	v_sub_nc_u32_e32 v10, v5, v10
	v_subrev_nc_u32_e32 v14, s52, v10
	v_cmp_le_u32_e32 vcc_lo, s52, v10
	s_delay_alu instid0(VALU_DEP_2) | instskip(NEXT) | instid1(VALU_DEP_1)
	v_dual_cndmask_b32 v10, v10, v14 :: v_dual_add_nc_u32 v11, 1, v3
	v_cndmask_b32_e32 v3, v3, v11, vcc_lo
	s_delay_alu instid0(VALU_DEP_2) | instskip(NEXT) | instid1(VALU_DEP_2)
	v_cmp_le_u32_e32 vcc_lo, s52, v10
	v_add_nc_u32_e32 v11, 1, v3
	s_delay_alu instid0(VALU_DEP_1)
	v_cndmask_b32_e32 v14, v3, v11, vcc_lo
.LBB2_15:                               ;   in Loop: Header=BB2_3 Depth=1
	s_or_b32 exec_lo, exec_lo, s0
	s_delay_alu instid0(VALU_DEP_1) | instskip(SKIP_1) | instid1(VALU_DEP_1)
	v_or_b32_e32 v3, s11, v15
                                        ; implicit-def: $vgpr10_vgpr11
	s_mov_b32 s0, exec_lo
	v_cmpx_ne_u64_e32 0, v[2:3]
	s_xor_b32 s55, exec_lo, s0
	s_cbranch_execz .LBB2_17
; %bb.16:                               ;   in Loop: Header=BB2_3 Depth=1
	s_ashr_i32 s56, s11, 31
	v_dual_mov_b32 v19, v2 :: v_dual_ashrrev_i32 v10, 31, v15
	s_mov_b32 s57, s56
	v_mov_b32_e32 v23, v2
	s_add_nc_u64 s[58:59], s[10:11], s[56:57]
	s_delay_alu instid0(VALU_DEP_2)
	v_mov_b32_e32 v11, v10
	s_xor_b64 s[56:57], s[58:59], s[56:57]
	v_mov_b32_e32 v27, v2
	s_cvt_f32_u32 s0, s56
	s_cvt_f32_u32 s34, s57
	s_sub_nc_u64 s[62:63], 0, s[56:57]
	v_add_nc_u64_e32 v[14:15], v[14:15], v[10:11]
	s_delay_alu instid0(SALU_CYCLE_1) | instskip(NEXT) | instid1(SALU_CYCLE_3)
	s_fmamk_f32 s0, s34, 0x4f800000, s0
	v_s_rcp_f32 s0, s0
	s_delay_alu instid0(VALU_DEP_1) | instskip(NEXT) | instid1(VALU_DEP_2)
	v_xor_b32_e32 v18, v14, v10
	v_xor_b32_e32 v22, v15, v10
	s_delay_alu instid0(TRANS32_DEP_1) | instskip(NEXT) | instid1(SALU_CYCLE_3)
	s_mul_f32 s0, s0, 0x5f7ffffc
	s_mul_f32 s34, s0, 0x2f800000
	s_delay_alu instid0(SALU_CYCLE_3) | instskip(NEXT) | instid1(SALU_CYCLE_3)
	s_trunc_f32 s34, s34
	s_fmamk_f32 s0, s34, 0xcf800000, s0
	s_cvt_u32_f32 s59, s34
	s_delay_alu instid0(SALU_CYCLE_2) | instskip(NEXT) | instid1(SALU_CYCLE_3)
	s_cvt_u32_f32 s58, s0
	s_mul_u64 s[64:65], s[62:63], s[58:59]
	s_delay_alu instid0(SALU_CYCLE_1)
	s_mul_hi_u32 s67, s58, s65
	s_mul_i32 s66, s58, s65
	s_mul_hi_u32 s34, s58, s64
	s_mul_i32 s68, s59, s64
	s_add_nc_u64 s[66:67], s[34:35], s[66:67]
	s_mul_hi_u32 s0, s59, s64
	s_mul_hi_u32 s69, s59, s65
	s_add_co_u32 s34, s66, s68
	s_add_co_ci_u32 s34, s67, s0
	s_mul_i32 s64, s59, s65
	s_add_co_ci_u32 s65, s69, 0
	s_delay_alu instid0(SALU_CYCLE_1) | instskip(NEXT) | instid1(SALU_CYCLE_1)
	s_add_nc_u64 s[64:65], s[34:35], s[64:65]
	s_add_co_u32 s58, s58, s64
	s_cselect_b32 s0, -1, 0
	s_delay_alu instid0(SALU_CYCLE_1) | instskip(SKIP_1) | instid1(SALU_CYCLE_1)
	s_cmp_lg_u32 s0, 0
	s_add_co_ci_u32 s59, s59, s65
	s_mul_u64 s[62:63], s[62:63], s[58:59]
	s_delay_alu instid0(SALU_CYCLE_1)
	s_mul_hi_u32 s65, s58, s63
	s_mul_i32 s64, s58, s63
	s_mul_hi_u32 s34, s58, s62
	s_mul_i32 s66, s59, s62
	s_add_nc_u64 s[64:65], s[34:35], s[64:65]
	s_mul_hi_u32 s0, s59, s62
	s_mul_hi_u32 s67, s59, s63
	s_add_co_u32 s34, s64, s66
	s_add_co_ci_u32 s34, s65, s0
	s_mul_i32 s62, s59, s63
	s_add_co_ci_u32 s63, s67, 0
	s_delay_alu instid0(SALU_CYCLE_1) | instskip(NEXT) | instid1(SALU_CYCLE_1)
	s_add_nc_u64 s[62:63], s[34:35], s[62:63]
	s_add_co_u32 s0, s58, s62
	s_cselect_b32 s34, -1, 0
	v_mul_hi_u32 v26, v18, s0
	s_cmp_lg_u32 s34, 0
	s_add_co_ci_u32 s34, s59, s63
	s_and_b64 s[58:59], s[0:1], s[50:51]
	v_mul_u64_e32 v[20:21], s[34:35], v[18:19]
	v_mul_u64_e32 v[14:15], s[58:59], v[22:23]
	v_mul_u64_e32 v[24:25], s[34:35], v[22:23]
	s_delay_alu instid0(VALU_DEP_3) | instskip(NEXT) | instid1(VALU_DEP_1)
	v_add_nc_u64_e32 v[20:21], v[26:27], v[20:21]
	v_add_co_u32 v3, vcc_lo, v20, v14
	s_delay_alu instid0(VALU_DEP_2) | instskip(NEXT) | instid1(VALU_DEP_4)
	v_add_co_ci_u32_e32 v26, vcc_lo, v21, v15, vcc_lo
	v_add_co_ci_u32_e32 v25, vcc_lo, 0, v25, vcc_lo
	s_delay_alu instid0(VALU_DEP_1) | instskip(NEXT) | instid1(VALU_DEP_1)
	v_add_nc_u64_e32 v[14:15], v[26:27], v[24:25]
	v_mul_u64_e32 v[14:15], s[56:57], v[14:15]
	s_delay_alu instid0(VALU_DEP_1) | instskip(NEXT) | instid1(VALU_DEP_2)
	v_sub_nc_u32_e32 v3, v22, v15
	v_sub_co_u32 v14, vcc_lo, v18, v14
	s_delay_alu instid0(VALU_DEP_1) | instskip(NEXT) | instid1(VALU_DEP_3)
	v_sub_co_ci_u32_e64 v15, null, v22, v15, vcc_lo
	v_subrev_co_ci_u32_e64 v3, null, s57, v3, vcc_lo
	s_delay_alu instid0(VALU_DEP_3) | instskip(SKIP_1) | instid1(VALU_DEP_3)
	v_sub_co_u32 v17, vcc_lo, v14, s56
	v_cmp_le_u32_e64 s0, s56, v14
	v_subrev_co_ci_u32_e64 v18, null, 0, v3, vcc_lo
	v_subrev_co_ci_u32_e64 v3, null, s57, v3, vcc_lo
	s_delay_alu instid0(VALU_DEP_3) | instskip(SKIP_2) | instid1(VALU_DEP_2)
	v_cndmask_b32_e64 v19, 0, -1, s0
	v_cmp_le_u32_e64 s0, s56, v17
	v_cmp_le_u32_e32 vcc_lo, s57, v15
	v_cndmask_b32_e64 v20, 0, -1, s0
	v_cmp_le_u32_e64 s0, s57, v18
	v_cndmask_b32_e64 v22, 0, -1, vcc_lo
	v_cmp_eq_u32_e32 vcc_lo, s57, v18
	s_delay_alu instid0(VALU_DEP_3) | instskip(SKIP_1) | instid1(VALU_DEP_2)
	v_cndmask_b32_e64 v21, 0, -1, s0
	v_cmp_eq_u32_e64 s0, s57, v15
	v_cndmask_b32_e32 v20, v21, v20, vcc_lo
	v_sub_co_u32 v21, vcc_lo, v17, s56
	s_delay_alu instid0(VALU_DEP_1) | instskip(NEXT) | instid1(VALU_DEP_3)
	v_subrev_co_ci_u32_e64 v3, null, 0, v3, vcc_lo
	v_cmp_ne_u32_e32 vcc_lo, 0, v20
	v_cndmask_b32_e64 v19, v22, v19, s0
	s_delay_alu instid0(VALU_DEP_3) | instskip(NEXT) | instid1(VALU_DEP_2)
	v_dual_cndmask_b32 v3, v18, v3, vcc_lo :: v_dual_cndmask_b32 v17, v17, v21, vcc_lo
	v_cmp_ne_u32_e32 vcc_lo, 0, v19
	s_delay_alu instid0(VALU_DEP_2) | instskip(NEXT) | instid1(VALU_DEP_1)
	v_dual_cndmask_b32 v3, v15, v3 :: v_dual_cndmask_b32 v14, v14, v17
	v_xor_b32_e32 v15, v3, v10
	s_delay_alu instid0(VALU_DEP_2) | instskip(NEXT) | instid1(VALU_DEP_1)
	v_xor_b32_e32 v14, v14, v10
	v_sub_nc_u64_e32 v[10:11], v[14:15], v[10:11]
                                        ; implicit-def: $vgpr14_vgpr15
.LBB2_17:                               ;   in Loop: Header=BB2_3 Depth=1
	s_and_not1_saveexec_b32 s0, s55
	s_cbranch_execz .LBB2_19
; %bb.18:                               ;   in Loop: Header=BB2_3 Depth=1
	v_cvt_f32_u32_e32 v3, s10
	s_sub_co_i32 s34, 0, s10
	v_mov_b32_e32 v11, v2
	s_delay_alu instid0(VALU_DEP_2) | instskip(SKIP_1) | instid1(TRANS32_DEP_1)
	v_rcp_iflag_f32_e32 v3, v3
	v_nop
	v_mul_f32_e32 v3, 0x4f7ffffe, v3
	s_delay_alu instid0(VALU_DEP_1) | instskip(NEXT) | instid1(VALU_DEP_1)
	v_cvt_u32_f32_e32 v3, v3
	v_mul_lo_u32 v10, s34, v3
	s_delay_alu instid0(VALU_DEP_1) | instskip(NEXT) | instid1(VALU_DEP_1)
	v_mul_hi_u32 v10, v3, v10
	v_add_nc_u32_e32 v3, v3, v10
	s_delay_alu instid0(VALU_DEP_1) | instskip(NEXT) | instid1(VALU_DEP_1)
	v_mul_hi_u32 v3, v14, v3
	v_mul_lo_u32 v3, v3, s10
	s_delay_alu instid0(VALU_DEP_1) | instskip(NEXT) | instid1(VALU_DEP_1)
	v_sub_nc_u32_e32 v3, v14, v3
	v_subrev_nc_u32_e32 v10, s10, v3
	v_cmp_le_u32_e32 vcc_lo, s10, v3
	s_delay_alu instid0(VALU_DEP_2) | instskip(NEXT) | instid1(VALU_DEP_1)
	v_cndmask_b32_e32 v3, v3, v10, vcc_lo
	v_subrev_nc_u32_e32 v10, s10, v3
	v_cmp_le_u32_e32 vcc_lo, s10, v3
	s_delay_alu instid0(VALU_DEP_2)
	v_cndmask_b32_e32 v10, v3, v10, vcc_lo
.LBB2_19:                               ;   in Loop: Header=BB2_3 Depth=1
	s_or_b32 exec_lo, exec_lo, s0
	v_mul_u64_e32 v[8:9], s[4:5], v[8:9]
	v_mul_u64_e32 v[14:15], s[22:23], v[12:13]
	s_delay_alu instid0(VALU_DEP_3) | instskip(SKIP_2) | instid1(VALU_DEP_3)
	v_mul_u64_e32 v[18:19], s[24:25], v[10:11]
	s_mov_b32 s0, 0
	s_mov_b32 s34, exec_lo
	v_sub_nc_u64_e32 v[6:7], v[6:7], v[8:9]
	s_delay_alu instid0(VALU_DEP_1) | instskip(NEXT) | instid1(VALU_DEP_1)
	v_mul_u64_e32 v[8:9], s[20:21], v[6:7]
	v_lshl_add_u64 v[8:9], v[8:9], 3, s[42:43]
	s_delay_alu instid0(VALU_DEP_1) | instskip(NEXT) | instid1(VALU_DEP_1)
	v_lshl_add_u64 v[8:9], v[14:15], 3, v[8:9]
	v_lshl_add_u64 v[8:9], v[18:19], 3, v[8:9]
	global_load_b64 v[8:9], v[8:9], off
	s_wait_loadcnt 0x0
	s_wait_xcnt 0x0
	v_cmpx_ne_u64_e64 s[30:31], v[8:9]
	s_xor_b32 s34, exec_lo, s34
	s_cbranch_execz .LBB2_26
; %bb.20:                               ;   in Loop: Header=BB2_3 Depth=1
	v_cmp_lt_i64_e32 vcc_lo, -1, v[8:9]
	v_cmp_gt_i64_e64 s0, s[6:7], v[8:9]
	s_mov_b32 s55, 0
	s_and_b32 s56, vcc_lo, s0
	s_delay_alu instid0(SALU_CYCLE_1)
	s_and_saveexec_b32 s0, s56
	s_cbranch_execz .LBB2_25
; %bb.21:                               ;   in Loop: Header=BB2_3 Depth=1
	v_mul_u64_e32 v[14:15], s[12:13], v[6:7]
	v_mul_u64_e32 v[18:19], s[14:15], v[8:9]
	;; [unrolled: 1-line block ×4, first 2 shown]
	s_and_not1_b32 vcc_lo, exec_lo, s1
	s_delay_alu instid0(VALU_DEP_4) | instskip(NEXT) | instid1(VALU_DEP_1)
	v_lshl_add_u64 v[14:15], v[14:15], 1, s[40:41]
	v_lshl_add_u64 v[14:15], v[18:19], 1, v[14:15]
	s_delay_alu instid0(VALU_DEP_1) | instskip(NEXT) | instid1(VALU_DEP_1)
	v_lshl_add_u64 v[14:15], v[20:21], 1, v[14:15]
	v_lshl_add_u64 v[14:15], v[22:23], 1, v[14:15]
	global_load_u16 v3, v[14:15], off
	s_cbranch_vccnz .LBB2_23
; %bb.22:                               ;   in Loop: Header=BB2_3 Depth=1
	v_lshl_add_u64 v[8:9], v[8:9], 1, s[28:29]
	global_load_u16 v8, v[8:9], off
	s_branch .LBB2_24
.LBB2_23:                               ;   in Loop: Header=BB2_3 Depth=1
	v_mov_b32_e32 v8, 0x3c00
.LBB2_24:                               ;   in Loop: Header=BB2_3 Depth=1
	v_mul_u64_e32 v[6:7], s[36:37], v[6:7]
	v_mul_u64_e32 v[12:13], s[38:39], v[12:13]
	;; [unrolled: 1-line block ×3, first 2 shown]
	s_wait_loadcnt 0x0
	v_mul_f16_e64 v3, v8, -v3
	s_mov_b32 s55, exec_lo
	s_delay_alu instid0(VALU_DEP_4) | instskip(NEXT) | instid1(VALU_DEP_1)
	v_lshl_add_u64 v[6:7], v[6:7], 1, s[26:27]
	v_lshl_add_u64 v[6:7], v[12:13], 1, v[6:7]
	s_delay_alu instid0(VALU_DEP_1)
	v_lshl_add_u64 v[6:7], v[10:11], 1, v[6:7]
	global_store_b16 v[6:7], v3, off
.LBB2_25:                               ;   in Loop: Header=BB2_3 Depth=1
	s_wait_xcnt 0x0
	s_or_b32 exec_lo, exec_lo, s0
	s_delay_alu instid0(SALU_CYCLE_1)
	s_and_b32 s0, s55, exec_lo
                                        ; implicit-def: $vgpr6_vgpr7
                                        ; implicit-def: $vgpr12_vgpr13
                                        ; implicit-def: $vgpr10_vgpr11
.LBB2_26:                               ;   in Loop: Header=BB2_3 Depth=1
	s_and_not1_saveexec_b32 s34, s34
	s_cbranch_execz .LBB2_28
; %bb.27:                               ;   in Loop: Header=BB2_3 Depth=1
	v_mul_u64_e32 v[6:7], s[36:37], v[6:7]
	v_mul_u64_e32 v[8:9], s[38:39], v[12:13]
	;; [unrolled: 1-line block ×3, first 2 shown]
	s_or_b32 s0, s0, exec_lo
	s_delay_alu instid0(VALU_DEP_3) | instskip(NEXT) | instid1(VALU_DEP_1)
	v_lshl_add_u64 v[6:7], v[6:7], 1, s[26:27]
	v_lshl_add_u64 v[6:7], v[8:9], 1, v[6:7]
	s_delay_alu instid0(VALU_DEP_1)
	v_lshl_add_u64 v[6:7], v[10:11], 1, v[6:7]
	global_store_b16 v[6:7], v2, off
.LBB2_28:                               ;   in Loop: Header=BB2_3 Depth=1
	s_wait_xcnt 0x0
	s_or_b32 exec_lo, exec_lo, s34
	s_mov_b32 s34, -1
	s_or_b32 s61, s61, exec_lo
	s_and_saveexec_b32 s55, s0
	s_cbranch_execz .LBB2_2
; %bb.29:                               ;   in Loop: Header=BB2_3 Depth=1
	v_add_nc_u64_e32 v[0:1], s[46:47], v[0:1]
	v_add_nc_u64_e32 v[4:5], s[48:49], v[4:5]
	s_and_not1_b32 s61, s61, exec_lo
	s_delay_alu instid0(VALU_DEP_2)
	v_cmp_le_i64_e32 vcc_lo, s[2:3], v[0:1]
	s_or_not1_b32 s34, vcc_lo, exec_lo
	s_branch .LBB2_2
.LBB2_30:
	s_or_b32 exec_lo, exec_lo, s33
	s_and_saveexec_b32 s0, s60
	s_delay_alu instid0(SALU_CYCLE_1)
	s_xor_b32 s0, exec_lo, s0
	s_cbranch_execnz .LBB2_32
.LBB2_31:
	s_endpgm
.LBB2_32:
	s_trap 2
	; divergent unreachable
	s_endpgm
	.section	.rodata,"a",@progbits
	.p2align	6, 0x0
	.amdhsa_kernel _ZN2at6native12_GLOBAL__N_135nll_loss2d_forward_no_reduce_kernelIN3c104HalfEEEvlN5torch10headeronly6detail27GenericPackedTensorAccessorINS7_14TensorAccessorINS3_8ArrayRefIlEET_Lm3ENS6_16DefaultPtrTraitsElEENS_6detail16IndexBoundsCheckILm4ElEESC_Lm4ESD_lEENS8_INS9_ISB_lLm2ESD_lEENSG_ILm3ElEElLm3ESD_lEENS8_INS9_ISB_SC_Lm2ESD_lEESK_SC_Lm3ESD_lEEPKSC_l
		.amdhsa_group_segment_fixed_size 0
		.amdhsa_private_segment_fixed_size 0
		.amdhsa_kernarg_size 464
		.amdhsa_user_sgpr_count 2
		.amdhsa_user_sgpr_dispatch_ptr 0
		.amdhsa_user_sgpr_queue_ptr 0
		.amdhsa_user_sgpr_kernarg_segment_ptr 1
		.amdhsa_user_sgpr_dispatch_id 0
		.amdhsa_user_sgpr_kernarg_preload_length 0
		.amdhsa_user_sgpr_kernarg_preload_offset 0
		.amdhsa_user_sgpr_private_segment_size 0
		.amdhsa_wavefront_size32 1
		.amdhsa_uses_dynamic_stack 0
		.amdhsa_enable_private_segment 0
		.amdhsa_system_sgpr_workgroup_id_x 1
		.amdhsa_system_sgpr_workgroup_id_y 0
		.amdhsa_system_sgpr_workgroup_id_z 0
		.amdhsa_system_sgpr_workgroup_info 0
		.amdhsa_system_vgpr_workitem_id 0
		.amdhsa_next_free_vgpr 28
		.amdhsa_next_free_sgpr 71
		.amdhsa_named_barrier_count 0
		.amdhsa_reserve_vcc 1
		.amdhsa_float_round_mode_32 0
		.amdhsa_float_round_mode_16_64 0
		.amdhsa_float_denorm_mode_32 3
		.amdhsa_float_denorm_mode_16_64 3
		.amdhsa_fp16_overflow 0
		.amdhsa_memory_ordered 1
		.amdhsa_forward_progress 1
		.amdhsa_inst_pref_size 30
		.amdhsa_round_robin_scheduling 0
		.amdhsa_exception_fp_ieee_invalid_op 0
		.amdhsa_exception_fp_denorm_src 0
		.amdhsa_exception_fp_ieee_div_zero 0
		.amdhsa_exception_fp_ieee_overflow 0
		.amdhsa_exception_fp_ieee_underflow 0
		.amdhsa_exception_fp_ieee_inexact 0
		.amdhsa_exception_int_div_zero 0
	.end_amdhsa_kernel
	.section	.text._ZN2at6native12_GLOBAL__N_135nll_loss2d_forward_no_reduce_kernelIN3c104HalfEEEvlN5torch10headeronly6detail27GenericPackedTensorAccessorINS7_14TensorAccessorINS3_8ArrayRefIlEET_Lm3ENS6_16DefaultPtrTraitsElEENS_6detail16IndexBoundsCheckILm4ElEESC_Lm4ESD_lEENS8_INS9_ISB_lLm2ESD_lEENSG_ILm3ElEElLm3ESD_lEENS8_INS9_ISB_SC_Lm2ESD_lEESK_SC_Lm3ESD_lEEPKSC_l,"axG",@progbits,_ZN2at6native12_GLOBAL__N_135nll_loss2d_forward_no_reduce_kernelIN3c104HalfEEEvlN5torch10headeronly6detail27GenericPackedTensorAccessorINS7_14TensorAccessorINS3_8ArrayRefIlEET_Lm3ENS6_16DefaultPtrTraitsElEENS_6detail16IndexBoundsCheckILm4ElEESC_Lm4ESD_lEENS8_INS9_ISB_lLm2ESD_lEENSG_ILm3ElEElLm3ESD_lEENS8_INS9_ISB_SC_Lm2ESD_lEESK_SC_Lm3ESD_lEEPKSC_l,comdat
.Lfunc_end2:
	.size	_ZN2at6native12_GLOBAL__N_135nll_loss2d_forward_no_reduce_kernelIN3c104HalfEEEvlN5torch10headeronly6detail27GenericPackedTensorAccessorINS7_14TensorAccessorINS3_8ArrayRefIlEET_Lm3ENS6_16DefaultPtrTraitsElEENS_6detail16IndexBoundsCheckILm4ElEESC_Lm4ESD_lEENS8_INS9_ISB_lLm2ESD_lEENSG_ILm3ElEElLm3ESD_lEENS8_INS9_ISB_SC_Lm2ESD_lEESK_SC_Lm3ESD_lEEPKSC_l, .Lfunc_end2-_ZN2at6native12_GLOBAL__N_135nll_loss2d_forward_no_reduce_kernelIN3c104HalfEEEvlN5torch10headeronly6detail27GenericPackedTensorAccessorINS7_14TensorAccessorINS3_8ArrayRefIlEET_Lm3ENS6_16DefaultPtrTraitsElEENS_6detail16IndexBoundsCheckILm4ElEESC_Lm4ESD_lEENS8_INS9_ISB_lLm2ESD_lEENSG_ILm3ElEElLm3ESD_lEENS8_INS9_ISB_SC_Lm2ESD_lEESK_SC_Lm3ESD_lEEPKSC_l
                                        ; -- End function
	.set _ZN2at6native12_GLOBAL__N_135nll_loss2d_forward_no_reduce_kernelIN3c104HalfEEEvlN5torch10headeronly6detail27GenericPackedTensorAccessorINS7_14TensorAccessorINS3_8ArrayRefIlEET_Lm3ENS6_16DefaultPtrTraitsElEENS_6detail16IndexBoundsCheckILm4ElEESC_Lm4ESD_lEENS8_INS9_ISB_lLm2ESD_lEENSG_ILm3ElEElLm3ESD_lEENS8_INS9_ISB_SC_Lm2ESD_lEESK_SC_Lm3ESD_lEEPKSC_l.num_vgpr, 28
	.set _ZN2at6native12_GLOBAL__N_135nll_loss2d_forward_no_reduce_kernelIN3c104HalfEEEvlN5torch10headeronly6detail27GenericPackedTensorAccessorINS7_14TensorAccessorINS3_8ArrayRefIlEET_Lm3ENS6_16DefaultPtrTraitsElEENS_6detail16IndexBoundsCheckILm4ElEESC_Lm4ESD_lEENS8_INS9_ISB_lLm2ESD_lEENSG_ILm3ElEElLm3ESD_lEENS8_INS9_ISB_SC_Lm2ESD_lEESK_SC_Lm3ESD_lEEPKSC_l.num_agpr, 0
	.set _ZN2at6native12_GLOBAL__N_135nll_loss2d_forward_no_reduce_kernelIN3c104HalfEEEvlN5torch10headeronly6detail27GenericPackedTensorAccessorINS7_14TensorAccessorINS3_8ArrayRefIlEET_Lm3ENS6_16DefaultPtrTraitsElEENS_6detail16IndexBoundsCheckILm4ElEESC_Lm4ESD_lEENS8_INS9_ISB_lLm2ESD_lEENSG_ILm3ElEElLm3ESD_lEENS8_INS9_ISB_SC_Lm2ESD_lEESK_SC_Lm3ESD_lEEPKSC_l.numbered_sgpr, 71
	.set _ZN2at6native12_GLOBAL__N_135nll_loss2d_forward_no_reduce_kernelIN3c104HalfEEEvlN5torch10headeronly6detail27GenericPackedTensorAccessorINS7_14TensorAccessorINS3_8ArrayRefIlEET_Lm3ENS6_16DefaultPtrTraitsElEENS_6detail16IndexBoundsCheckILm4ElEESC_Lm4ESD_lEENS8_INS9_ISB_lLm2ESD_lEENSG_ILm3ElEElLm3ESD_lEENS8_INS9_ISB_SC_Lm2ESD_lEESK_SC_Lm3ESD_lEEPKSC_l.num_named_barrier, 0
	.set _ZN2at6native12_GLOBAL__N_135nll_loss2d_forward_no_reduce_kernelIN3c104HalfEEEvlN5torch10headeronly6detail27GenericPackedTensorAccessorINS7_14TensorAccessorINS3_8ArrayRefIlEET_Lm3ENS6_16DefaultPtrTraitsElEENS_6detail16IndexBoundsCheckILm4ElEESC_Lm4ESD_lEENS8_INS9_ISB_lLm2ESD_lEENSG_ILm3ElEElLm3ESD_lEENS8_INS9_ISB_SC_Lm2ESD_lEESK_SC_Lm3ESD_lEEPKSC_l.private_seg_size, 0
	.set _ZN2at6native12_GLOBAL__N_135nll_loss2d_forward_no_reduce_kernelIN3c104HalfEEEvlN5torch10headeronly6detail27GenericPackedTensorAccessorINS7_14TensorAccessorINS3_8ArrayRefIlEET_Lm3ENS6_16DefaultPtrTraitsElEENS_6detail16IndexBoundsCheckILm4ElEESC_Lm4ESD_lEENS8_INS9_ISB_lLm2ESD_lEENSG_ILm3ElEElLm3ESD_lEENS8_INS9_ISB_SC_Lm2ESD_lEESK_SC_Lm3ESD_lEEPKSC_l.uses_vcc, 1
	.set _ZN2at6native12_GLOBAL__N_135nll_loss2d_forward_no_reduce_kernelIN3c104HalfEEEvlN5torch10headeronly6detail27GenericPackedTensorAccessorINS7_14TensorAccessorINS3_8ArrayRefIlEET_Lm3ENS6_16DefaultPtrTraitsElEENS_6detail16IndexBoundsCheckILm4ElEESC_Lm4ESD_lEENS8_INS9_ISB_lLm2ESD_lEENSG_ILm3ElEElLm3ESD_lEENS8_INS9_ISB_SC_Lm2ESD_lEESK_SC_Lm3ESD_lEEPKSC_l.uses_flat_scratch, 0
	.set _ZN2at6native12_GLOBAL__N_135nll_loss2d_forward_no_reduce_kernelIN3c104HalfEEEvlN5torch10headeronly6detail27GenericPackedTensorAccessorINS7_14TensorAccessorINS3_8ArrayRefIlEET_Lm3ENS6_16DefaultPtrTraitsElEENS_6detail16IndexBoundsCheckILm4ElEESC_Lm4ESD_lEENS8_INS9_ISB_lLm2ESD_lEENSG_ILm3ElEElLm3ESD_lEENS8_INS9_ISB_SC_Lm2ESD_lEESK_SC_Lm3ESD_lEEPKSC_l.has_dyn_sized_stack, 0
	.set _ZN2at6native12_GLOBAL__N_135nll_loss2d_forward_no_reduce_kernelIN3c104HalfEEEvlN5torch10headeronly6detail27GenericPackedTensorAccessorINS7_14TensorAccessorINS3_8ArrayRefIlEET_Lm3ENS6_16DefaultPtrTraitsElEENS_6detail16IndexBoundsCheckILm4ElEESC_Lm4ESD_lEENS8_INS9_ISB_lLm2ESD_lEENSG_ILm3ElEElLm3ESD_lEENS8_INS9_ISB_SC_Lm2ESD_lEESK_SC_Lm3ESD_lEEPKSC_l.has_recursion, 0
	.set _ZN2at6native12_GLOBAL__N_135nll_loss2d_forward_no_reduce_kernelIN3c104HalfEEEvlN5torch10headeronly6detail27GenericPackedTensorAccessorINS7_14TensorAccessorINS3_8ArrayRefIlEET_Lm3ENS6_16DefaultPtrTraitsElEENS_6detail16IndexBoundsCheckILm4ElEESC_Lm4ESD_lEENS8_INS9_ISB_lLm2ESD_lEENSG_ILm3ElEElLm3ESD_lEENS8_INS9_ISB_SC_Lm2ESD_lEESK_SC_Lm3ESD_lEEPKSC_l.has_indirect_call, 0
	.section	.AMDGPU.csdata,"",@progbits
; Kernel info:
; codeLenInByte = 3764
; TotalNumSgprs: 73
; NumVgprs: 28
; ScratchSize: 0
; MemoryBound: 0
; FloatMode: 240
; IeeeMode: 1
; LDSByteSize: 0 bytes/workgroup (compile time only)
; SGPRBlocks: 0
; VGPRBlocks: 1
; NumSGPRsForWavesPerEU: 73
; NumVGPRsForWavesPerEU: 28
; NamedBarCnt: 0
; Occupancy: 16
; WaveLimiterHint : 1
; COMPUTE_PGM_RSRC2:SCRATCH_EN: 0
; COMPUTE_PGM_RSRC2:USER_SGPR: 2
; COMPUTE_PGM_RSRC2:TRAP_HANDLER: 0
; COMPUTE_PGM_RSRC2:TGID_X_EN: 1
; COMPUTE_PGM_RSRC2:TGID_Y_EN: 0
; COMPUTE_PGM_RSRC2:TGID_Z_EN: 0
; COMPUTE_PGM_RSRC2:TIDIG_COMP_CNT: 0
	.section	.text._ZN2at6native12_GLOBAL__N_135nll_loss2d_forward_no_reduce_kernelIN3c108BFloat16EEEvlN5torch10headeronly6detail27GenericPackedTensorAccessorINS7_14TensorAccessorINS3_8ArrayRefIlEET_Lm3ENS6_16DefaultPtrTraitsElEENS_6detail16IndexBoundsCheckILm4ElEESC_Lm4ESD_lEENS8_INS9_ISB_lLm2ESD_lEENSG_ILm3ElEElLm3ESD_lEENS8_INS9_ISB_SC_Lm2ESD_lEESK_SC_Lm3ESD_lEEPKSC_l,"axG",@progbits,_ZN2at6native12_GLOBAL__N_135nll_loss2d_forward_no_reduce_kernelIN3c108BFloat16EEEvlN5torch10headeronly6detail27GenericPackedTensorAccessorINS7_14TensorAccessorINS3_8ArrayRefIlEET_Lm3ENS6_16DefaultPtrTraitsElEENS_6detail16IndexBoundsCheckILm4ElEESC_Lm4ESD_lEENS8_INS9_ISB_lLm2ESD_lEENSG_ILm3ElEElLm3ESD_lEENS8_INS9_ISB_SC_Lm2ESD_lEESK_SC_Lm3ESD_lEEPKSC_l,comdat
	.globl	_ZN2at6native12_GLOBAL__N_135nll_loss2d_forward_no_reduce_kernelIN3c108BFloat16EEEvlN5torch10headeronly6detail27GenericPackedTensorAccessorINS7_14TensorAccessorINS3_8ArrayRefIlEET_Lm3ENS6_16DefaultPtrTraitsElEENS_6detail16IndexBoundsCheckILm4ElEESC_Lm4ESD_lEENS8_INS9_ISB_lLm2ESD_lEENSG_ILm3ElEElLm3ESD_lEENS8_INS9_ISB_SC_Lm2ESD_lEESK_SC_Lm3ESD_lEEPKSC_l ; -- Begin function _ZN2at6native12_GLOBAL__N_135nll_loss2d_forward_no_reduce_kernelIN3c108BFloat16EEEvlN5torch10headeronly6detail27GenericPackedTensorAccessorINS7_14TensorAccessorINS3_8ArrayRefIlEET_Lm3ENS6_16DefaultPtrTraitsElEENS_6detail16IndexBoundsCheckILm4ElEESC_Lm4ESD_lEENS8_INS9_ISB_lLm2ESD_lEENSG_ILm3ElEElLm3ESD_lEENS8_INS9_ISB_SC_Lm2ESD_lEESK_SC_Lm3ESD_lEEPKSC_l
	.p2align	8
	.type	_ZN2at6native12_GLOBAL__N_135nll_loss2d_forward_no_reduce_kernelIN3c108BFloat16EEEvlN5torch10headeronly6detail27GenericPackedTensorAccessorINS7_14TensorAccessorINS3_8ArrayRefIlEET_Lm3ENS6_16DefaultPtrTraitsElEENS_6detail16IndexBoundsCheckILm4ElEESC_Lm4ESD_lEENS8_INS9_ISB_lLm2ESD_lEENSG_ILm3ElEElLm3ESD_lEENS8_INS9_ISB_SC_Lm2ESD_lEESK_SC_Lm3ESD_lEEPKSC_l,@function
_ZN2at6native12_GLOBAL__N_135nll_loss2d_forward_no_reduce_kernelIN3c108BFloat16EEEvlN5torch10headeronly6detail27GenericPackedTensorAccessorINS7_14TensorAccessorINS3_8ArrayRefIlEET_Lm3ENS6_16DefaultPtrTraitsElEENS_6detail16IndexBoundsCheckILm4ElEESC_Lm4ESD_lEENS8_INS9_ISB_lLm2ESD_lEENSG_ILm3ElEElLm3ESD_lEENS8_INS9_ISB_SC_Lm2ESD_lEESK_SC_Lm3ESD_lEEPKSC_l: ; @_ZN2at6native12_GLOBAL__N_135nll_loss2d_forward_no_reduce_kernelIN3c108BFloat16EEEvlN5torch10headeronly6detail27GenericPackedTensorAccessorINS7_14TensorAccessorINS3_8ArrayRefIlEET_Lm3ENS6_16DefaultPtrTraitsElEENS_6detail16IndexBoundsCheckILm4ElEESC_Lm4ESD_lEENS8_INS9_ISB_lLm2ESD_lEENSG_ILm3ElEElLm3ESD_lEENS8_INS9_ISB_SC_Lm2ESD_lEESK_SC_Lm3ESD_lEEPKSC_l
; %bb.0:
	s_clause 0x1
	s_load_b32 s4, s[0:1], 0xdc
	s_load_b64 s[2:3], s[0:1], 0x0
	s_bfe_u32 s5, ttmp6, 0x4000c
	v_mov_b32_e32 v2, 0
	s_add_co_i32 s5, s5, 1
	s_and_b32 s6, ttmp6, 15
	s_mul_i32 s5, ttmp9, s5
	s_getreg_b32 s7, hwreg(HW_REG_IB_STS2, 6, 4)
	v_mov_b32_e32 v1, v2
	s_add_co_i32 s6, s6, s5
	s_mov_b32 s35, 0
	s_wait_kmcnt 0x0
	s_and_b32 s33, s4, 0xffff
	s_cmp_eq_u32 s7, 0
	s_cselect_b32 s4, ttmp9, s6
	s_delay_alu instid0(SALU_CYCLE_1) | instskip(SKIP_1) | instid1(VALU_DEP_1)
	v_mad_nc_u64_u32 v[0:1], s33, s4, v[0:1]
	s_mov_b32 s4, exec_lo
	v_cmpx_gt_i64_e64 s[2:3], v[0:1]
	s_cbranch_execz .LBB3_29
; %bb.1:
	s_clause 0x1
	s_load_b256 s[4:11], s[0:1], 0x10
	s_load_b128 s[28:31], s[0:1], 0xc0
	s_add_nc_u64 s[20:21], s[0:1], 0xd0
	s_load_b32 s34, s[20:21], 0x0
	s_clause 0x2
	s_load_b64 s[40:41], s[0:1], 0x8
	s_load_b256 s[12:19], s[0:1], 0x30
	s_load_b64 s[42:43], s[0:1], 0x50
	s_wait_xcnt 0x0
	s_clause 0x2
	s_load_b256 s[20:27], s[0:1], 0x70
	s_load_b64 s[44:45], s[0:1], 0xb8
	s_load_b128 s[36:39], s[0:1], 0xa8
	s_mov_b32 s47, s35
	s_mov_b32 s48, s35
	s_mov_b64 s[50:51], 0xffffffff
                                        ; implicit-def: $sgpr60
                                        ; implicit-def: $sgpr61
	s_wait_kmcnt 0x0
	v_cvt_f32_u32_e32 v3, s4
	s_cmp_lg_u64 s[28:29], 0
	s_mul_i32 s46, s34, s33
	s_mul_u64 s[52:53], s[8:9], s[4:5]
	s_cselect_b32 s1, -1, 0
	v_rcp_iflag_f32_e32 v4, v3
	v_nop
	v_mov_b32_e32 v3, v0
	s_mov_b32 s49, s46
	s_ashr_i32 s54, s5, 31
	s_mov_b32 s33, 0
	s_delay_alu instid0(TRANS32_DEP_1) | instskip(NEXT) | instid1(VALU_DEP_1)
	v_mul_f32_e32 v4, 0x4f7ffffe, v4
	v_cvt_u32_f32_e32 v16, v4
	v_mov_b64_e32 v[4:5], v[2:3]
	s_branch .LBB3_3
.LBB3_2:                                ;   in Loop: Header=BB3_3 Depth=1
	s_wait_xcnt 0x0
	s_or_b32 exec_lo, exec_lo, s0
	s_delay_alu instid0(SALU_CYCLE_1) | instskip(NEXT) | instid1(SALU_CYCLE_1)
	s_and_b32 s0, exec_lo, s34
	s_or_b32 s33, s0, s33
	s_and_not1_b32 s0, s60, exec_lo
	s_and_b32 s34, s61, exec_lo
	s_delay_alu instid0(SALU_CYCLE_1)
	s_or_b32 s60, s0, s34
	s_and_not1_b32 exec_lo, exec_lo, s33
	s_cbranch_execz .LBB3_28
.LBB3_3:                                ; =>This Inner Loop Header: Depth=1
	s_delay_alu instid0(VALU_DEP_1) | instskip(SKIP_1) | instid1(VALU_DEP_1)
	v_dual_mov_b32 v6, v5 :: v_dual_ashrrev_i32 v7, 31, v5
                                        ; implicit-def: $vgpr8_vgpr9
	s_mov_b32 s0, exec_lo
	v_dual_ashrrev_i32 v10, 31, v7 :: v_dual_bitop2_b32 v3, s5, v7 bitop3:0x54
	s_delay_alu instid0(VALU_DEP_1)
	v_cmpx_ne_u64_e32 0, v[2:3]
	s_xor_b32 s58, exec_lo, s0
	s_cbranch_execz .LBB3_5
; %bb.4:                                ;   in Loop: Header=BB3_3 Depth=1
	s_mov_b32 s55, s54
	v_dual_mov_b32 v11, v10 :: v_dual_mov_b32 v13, v2
	s_add_nc_u64 s[56:57], s[4:5], s[54:55]
	v_mov_b32_e32 v19, v2
	s_xor_b64 s[56:57], s[56:57], s[54:55]
	s_delay_alu instid0(VALU_DEP_2) | instskip(SKIP_4) | instid1(SALU_CYCLE_1)
	v_add_nc_u64_e32 v[8:9], v[6:7], v[10:11]
	s_cvt_f32_u32 s0, s56
	s_cvt_f32_u32 s34, s57
	s_sub_nc_u64 s[64:65], 0, s[56:57]
	v_mov_b32_e32 v23, v2
	s_fmamk_f32 s0, s34, 0x4f800000, s0
	s_delay_alu instid0(VALU_DEP_2) | instskip(SKIP_1) | instid1(SALU_CYCLE_1)
	v_xor_b32_e32 v12, v8, v10
	v_xor_b32_e32 v18, v9, v10
	v_s_rcp_f32 s0, s0
	s_delay_alu instid0(TRANS32_DEP_1) | instskip(NEXT) | instid1(SALU_CYCLE_3)
	s_mul_f32 s0, s0, 0x5f7ffffc
	s_mul_f32 s34, s0, 0x2f800000
	s_delay_alu instid0(SALU_CYCLE_3) | instskip(NEXT) | instid1(SALU_CYCLE_3)
	s_trunc_f32 s34, s34
	s_fmamk_f32 s0, s34, 0xcf800000, s0
	s_cvt_u32_f32 s63, s34
	s_delay_alu instid0(SALU_CYCLE_2) | instskip(NEXT) | instid1(SALU_CYCLE_3)
	s_cvt_u32_f32 s62, s0
	s_mul_u64 s[66:67], s[64:65], s[62:63]
	s_delay_alu instid0(SALU_CYCLE_1)
	s_mul_hi_u32 s69, s62, s67
	s_mul_i32 s68, s62, s67
	s_mul_hi_u32 s34, s62, s66
	s_mul_i32 s55, s63, s66
	s_add_nc_u64 s[68:69], s[34:35], s[68:69]
	s_mul_hi_u32 s0, s63, s66
	s_mul_hi_u32 s59, s63, s67
	s_add_co_u32 s34, s68, s55
	s_add_co_ci_u32 s34, s69, s0
	s_mul_i32 s66, s63, s67
	s_add_co_ci_u32 s67, s59, 0
	s_delay_alu instid0(SALU_CYCLE_1) | instskip(NEXT) | instid1(SALU_CYCLE_1)
	s_add_nc_u64 s[66:67], s[34:35], s[66:67]
	s_add_co_u32 s62, s62, s66
	s_cselect_b32 s0, -1, 0
	s_delay_alu instid0(SALU_CYCLE_1) | instskip(SKIP_1) | instid1(SALU_CYCLE_1)
	s_cmp_lg_u32 s0, 0
	s_add_co_ci_u32 s63, s63, s67
	s_mul_u64 s[64:65], s[64:65], s[62:63]
	s_delay_alu instid0(SALU_CYCLE_1)
	s_mul_hi_u32 s67, s62, s65
	s_mul_i32 s66, s62, s65
	s_mul_hi_u32 s34, s62, s64
	s_mul_i32 s55, s63, s64
	s_add_nc_u64 s[66:67], s[34:35], s[66:67]
	s_mul_hi_u32 s0, s63, s64
	s_mul_hi_u32 s59, s63, s65
	s_add_co_u32 s34, s66, s55
	s_add_co_ci_u32 s34, s67, s0
	s_mul_i32 s64, s63, s65
	s_add_co_ci_u32 s65, s59, 0
	s_delay_alu instid0(SALU_CYCLE_1) | instskip(NEXT) | instid1(SALU_CYCLE_1)
	s_add_nc_u64 s[64:65], s[34:35], s[64:65]
	s_add_co_u32 s0, s62, s64
	s_cselect_b32 s34, -1, 0
	v_nop
	v_mul_hi_u32 v22, v12, s0
	s_cmp_lg_u32 s34, 0
	s_add_co_ci_u32 s34, s63, s65
	s_and_b64 s[62:63], s[0:1], s[50:51]
	v_mul_u64_e32 v[14:15], s[34:35], v[12:13]
	v_mul_u64_e32 v[8:9], s[62:63], v[18:19]
	;; [unrolled: 1-line block ×3, first 2 shown]
	s_delay_alu instid0(VALU_DEP_3) | instskip(NEXT) | instid1(VALU_DEP_1)
	v_add_nc_u64_e32 v[14:15], v[22:23], v[14:15]
	v_add_co_u32 v3, vcc_lo, v14, v8
	s_delay_alu instid0(VALU_DEP_2) | instskip(NEXT) | instid1(VALU_DEP_4)
	v_add_co_ci_u32_e32 v22, vcc_lo, v15, v9, vcc_lo
	v_add_co_ci_u32_e32 v21, vcc_lo, 0, v21, vcc_lo
	s_delay_alu instid0(VALU_DEP_1) | instskip(NEXT) | instid1(VALU_DEP_1)
	v_add_nc_u64_e32 v[8:9], v[22:23], v[20:21]
	v_mul_u64_e32 v[14:15], s[56:57], v[8:9]
	s_delay_alu instid0(VALU_DEP_1) | instskip(NEXT) | instid1(VALU_DEP_2)
	v_sub_nc_u32_e32 v3, v18, v15
	v_sub_co_u32 v11, vcc_lo, v12, v14
	s_delay_alu instid0(VALU_DEP_1) | instskip(NEXT) | instid1(VALU_DEP_3)
	v_sub_co_ci_u32_e64 v17, null, v18, v15, vcc_lo
	v_subrev_co_ci_u32_e64 v3, null, s57, v3, vcc_lo
	s_delay_alu instid0(VALU_DEP_3) | instskip(SKIP_1) | instid1(VALU_DEP_3)
	v_sub_co_u32 v12, s0, v11, s56
	v_add_nc_u64_e32 v[14:15], 1, v[8:9]
	v_subrev_co_ci_u32_e64 v3, null, 0, v3, s0
	s_delay_alu instid0(VALU_DEP_3) | instskip(SKIP_1) | instid1(VALU_DEP_3)
	v_cmp_le_u32_e32 vcc_lo, s56, v12
	v_cndmask_b32_e64 v12, 0, -1, vcc_lo
	v_cmp_le_u32_e32 vcc_lo, s57, v3
	v_cndmask_b32_e64 v13, 0, -1, vcc_lo
	;; [unrolled: 2-line block ×4, first 2 shown]
	v_cmp_eq_u32_e32 vcc_lo, s57, v3
	v_cndmask_b32_e32 v3, v13, v12, vcc_lo
	v_cmp_eq_u32_e32 vcc_lo, s57, v17
	v_add_nc_u64_e32 v[12:13], 2, v[8:9]
	v_cndmask_b32_e32 v11, v18, v11, vcc_lo
	s_delay_alu instid0(VALU_DEP_4) | instskip(NEXT) | instid1(VALU_DEP_2)
	v_cmp_ne_u32_e32 vcc_lo, 0, v3
	v_cmp_ne_u32_e64 s0, 0, v11
	s_delay_alu instid0(VALU_DEP_4) | instskip(NEXT) | instid1(VALU_DEP_1)
	v_dual_cndmask_b32 v3, v15, v13, vcc_lo :: v_dual_cndmask_b32 v11, v14, v12, vcc_lo
	v_dual_cndmask_b32 v3, v9, v3, s0 :: v_dual_bitop2_b32 v12, s54, v10 bitop3:0x14
	s_delay_alu instid0(VALU_DEP_1) | instskip(NEXT) | instid1(VALU_DEP_2)
	v_mov_b32_e32 v13, v12
	v_dual_cndmask_b32 v8, v8, v11, s0 :: v_dual_bitop2_b32 v9, v3, v12 bitop3:0x14
	s_delay_alu instid0(VALU_DEP_1) | instskip(NEXT) | instid1(VALU_DEP_1)
	v_xor_b32_e32 v8, v8, v12
	v_sub_nc_u64_e32 v[8:9], v[8:9], v[12:13]
.LBB3_5:                                ;   in Loop: Header=BB3_3 Depth=1
	s_and_not1_saveexec_b32 s0, s58
	s_cbranch_execz .LBB3_7
; %bb.6:                                ;   in Loop: Header=BB3_3 Depth=1
	s_sub_co_i32 s34, 0, s4
	s_delay_alu instid0(SALU_CYCLE_1) | instskip(NEXT) | instid1(VALU_DEP_1)
	v_mul_lo_u32 v3, s34, v16
	v_mul_hi_u32 v3, v16, v3
	s_delay_alu instid0(VALU_DEP_1) | instskip(NEXT) | instid1(VALU_DEP_1)
	v_add_nc_u32_e32 v3, v16, v3
	v_mul_hi_u32 v3, v6, v3
	s_delay_alu instid0(VALU_DEP_1) | instskip(NEXT) | instid1(VALU_DEP_1)
	v_mul_lo_u32 v8, v3, s4
	v_dual_add_nc_u32 v9, 1, v3 :: v_dual_sub_nc_u32 v8, v6, v8
	s_delay_alu instid0(VALU_DEP_1) | instskip(SKIP_1) | instid1(VALU_DEP_2)
	v_subrev_nc_u32_e32 v11, s4, v8
	v_cmp_le_u32_e32 vcc_lo, s4, v8
	v_dual_cndmask_b32 v8, v8, v11 :: v_dual_cndmask_b32 v3, v3, v9
	s_delay_alu instid0(VALU_DEP_1) | instskip(NEXT) | instid1(VALU_DEP_2)
	v_cmp_le_u32_e32 vcc_lo, s4, v8
	v_add_nc_u32_e32 v9, 1, v3
	s_delay_alu instid0(VALU_DEP_1)
	v_dual_cndmask_b32 v8, v3, v9 :: v_dual_mov_b32 v9, v2
.LBB3_7:                                ;   in Loop: Header=BB3_3 Depth=1
	s_or_b32 exec_lo, exec_lo, s0
	s_delay_alu instid0(VALU_DEP_1) | instskip(SKIP_1) | instid1(VALU_DEP_1)
	v_or_b32_e32 v3, s9, v9
                                        ; implicit-def: $vgpr12_vgpr13
	s_mov_b32 s0, exec_lo
	v_cmpx_ne_u64_e32 0, v[2:3]
	s_xor_b32 s55, exec_lo, s0
	s_cbranch_execz .LBB3_9
; %bb.8:                                ;   in Loop: Header=BB3_3 Depth=1
	s_ashr_i32 s56, s9, 31
	v_dual_mov_b32 v19, v2 :: v_dual_ashrrev_i32 v12, 31, v9
	s_mov_b32 s57, s56
	v_mov_b32_e32 v27, v2
	s_add_nc_u64 s[58:59], s[8:9], s[56:57]
	s_delay_alu instid0(VALU_DEP_2) | instskip(SKIP_1) | instid1(SALU_CYCLE_1)
	v_mov_b32_e32 v13, v12
	s_xor_b64 s[56:57], s[58:59], s[56:57]
	s_cvt_f32_u32 s0, s56
	s_cvt_f32_u32 s34, s57
	s_sub_nc_u64 s[62:63], 0, s[56:57]
	v_add_nc_u64_e32 v[14:15], v[8:9], v[12:13]
	v_mov_b32_e32 v23, v2
	s_fmamk_f32 s0, s34, 0x4f800000, s0
	s_delay_alu instid0(SALU_CYCLE_3) | instskip(NEXT) | instid1(VALU_DEP_2)
	v_s_rcp_f32 s0, s0
	v_xor_b32_e32 v18, v14, v12
	s_delay_alu instid0(VALU_DEP_3) | instskip(NEXT) | instid1(TRANS32_DEP_1)
	v_xor_b32_e32 v22, v15, v12
	s_mul_f32 s0, s0, 0x5f7ffffc
	s_delay_alu instid0(SALU_CYCLE_3) | instskip(NEXT) | instid1(SALU_CYCLE_3)
	s_mul_f32 s34, s0, 0x2f800000
	s_trunc_f32 s34, s34
	s_delay_alu instid0(SALU_CYCLE_3) | instskip(SKIP_1) | instid1(SALU_CYCLE_2)
	s_fmamk_f32 s0, s34, 0xcf800000, s0
	s_cvt_u32_f32 s59, s34
	s_cvt_u32_f32 s58, s0
	s_delay_alu instid0(SALU_CYCLE_3) | instskip(NEXT) | instid1(SALU_CYCLE_1)
	s_mul_u64 s[64:65], s[62:63], s[58:59]
	s_mul_hi_u32 s67, s58, s65
	s_mul_i32 s66, s58, s65
	s_mul_hi_u32 s34, s58, s64
	s_mul_i32 s68, s59, s64
	s_add_nc_u64 s[66:67], s[34:35], s[66:67]
	s_mul_hi_u32 s0, s59, s64
	s_mul_hi_u32 s69, s59, s65
	s_add_co_u32 s34, s66, s68
	s_add_co_ci_u32 s34, s67, s0
	s_mul_i32 s64, s59, s65
	s_add_co_ci_u32 s65, s69, 0
	s_delay_alu instid0(SALU_CYCLE_1) | instskip(NEXT) | instid1(SALU_CYCLE_1)
	s_add_nc_u64 s[64:65], s[34:35], s[64:65]
	s_add_co_u32 s58, s58, s64
	s_cselect_b32 s0, -1, 0
	s_delay_alu instid0(SALU_CYCLE_1) | instskip(SKIP_1) | instid1(SALU_CYCLE_1)
	s_cmp_lg_u32 s0, 0
	s_add_co_ci_u32 s59, s59, s65
	s_mul_u64 s[62:63], s[62:63], s[58:59]
	s_delay_alu instid0(SALU_CYCLE_1)
	s_mul_hi_u32 s65, s58, s63
	s_mul_i32 s64, s58, s63
	s_mul_hi_u32 s34, s58, s62
	s_mul_i32 s66, s59, s62
	s_add_nc_u64 s[64:65], s[34:35], s[64:65]
	s_mul_hi_u32 s0, s59, s62
	s_mul_hi_u32 s67, s59, s63
	s_add_co_u32 s34, s64, s66
	s_add_co_ci_u32 s34, s65, s0
	s_mul_i32 s62, s59, s63
	s_add_co_ci_u32 s63, s67, 0
	s_delay_alu instid0(SALU_CYCLE_1) | instskip(NEXT) | instid1(SALU_CYCLE_1)
	s_add_nc_u64 s[62:63], s[34:35], s[62:63]
	s_add_co_u32 s0, s58, s62
	s_cselect_b32 s34, -1, 0
	v_mul_hi_u32 v26, v18, s0
	s_cmp_lg_u32 s34, 0
	s_add_co_ci_u32 s34, s59, s63
	s_and_b64 s[58:59], s[0:1], s[50:51]
	v_mul_u64_e32 v[20:21], s[34:35], v[18:19]
	v_mul_u64_e32 v[14:15], s[58:59], v[22:23]
	;; [unrolled: 1-line block ×3, first 2 shown]
	s_delay_alu instid0(VALU_DEP_3) | instskip(NEXT) | instid1(VALU_DEP_1)
	v_add_nc_u64_e32 v[20:21], v[26:27], v[20:21]
	v_add_co_u32 v3, vcc_lo, v20, v14
	s_delay_alu instid0(VALU_DEP_2) | instskip(NEXT) | instid1(VALU_DEP_4)
	v_add_co_ci_u32_e32 v26, vcc_lo, v21, v15, vcc_lo
	v_add_co_ci_u32_e32 v25, vcc_lo, 0, v25, vcc_lo
	s_delay_alu instid0(VALU_DEP_1) | instskip(NEXT) | instid1(VALU_DEP_1)
	v_add_nc_u64_e32 v[14:15], v[26:27], v[24:25]
	v_mul_u64_e32 v[14:15], s[56:57], v[14:15]
	s_delay_alu instid0(VALU_DEP_1) | instskip(NEXT) | instid1(VALU_DEP_1)
	v_sub_co_u32 v11, vcc_lo, v18, v14
	v_sub_co_ci_u32_e64 v14, null, v22, v15, vcc_lo
	s_delay_alu instid0(VALU_DEP_2) | instskip(NEXT) | instid1(VALU_DEP_1)
	v_cmp_le_u32_e64 s0, s56, v11
	v_cndmask_b32_e64 v18, 0, -1, s0
	v_sub_nc_u32_e32 v3, v22, v15
	s_delay_alu instid0(VALU_DEP_1) | instskip(SKIP_1) | instid1(VALU_DEP_1)
	v_subrev_co_ci_u32_e64 v3, null, s57, v3, vcc_lo
	v_sub_co_u32 v15, vcc_lo, v11, s56
	v_subrev_co_ci_u32_e64 v17, null, 0, v3, vcc_lo
	s_delay_alu instid0(VALU_DEP_2) | instskip(SKIP_2) | instid1(VALU_DEP_3)
	v_cmp_le_u32_e64 s0, s56, v15
	v_subrev_co_ci_u32_e64 v3, null, s57, v3, vcc_lo
	v_cmp_le_u32_e32 vcc_lo, s57, v14
	v_cndmask_b32_e64 v19, 0, -1, s0
	v_cmp_le_u32_e64 s0, s57, v17
	v_cndmask_b32_e64 v21, 0, -1, vcc_lo
	v_cmp_eq_u32_e32 vcc_lo, s57, v17
	s_delay_alu instid0(VALU_DEP_3) | instskip(SKIP_1) | instid1(VALU_DEP_2)
	v_cndmask_b32_e64 v20, 0, -1, s0
	v_cmp_eq_u32_e64 s0, s57, v14
	v_cndmask_b32_e32 v19, v20, v19, vcc_lo
	v_sub_co_u32 v20, vcc_lo, v15, s56
	s_delay_alu instid0(VALU_DEP_1) | instskip(NEXT) | instid1(VALU_DEP_3)
	v_subrev_co_ci_u32_e64 v3, null, 0, v3, vcc_lo
	v_cmp_ne_u32_e32 vcc_lo, 0, v19
	v_cndmask_b32_e64 v18, v21, v18, s0
	s_delay_alu instid0(VALU_DEP_3) | instskip(NEXT) | instid1(VALU_DEP_2)
	v_dual_cndmask_b32 v3, v17, v3, vcc_lo :: v_dual_cndmask_b32 v15, v15, v20, vcc_lo
	v_cmp_ne_u32_e32 vcc_lo, 0, v18
	s_delay_alu instid0(VALU_DEP_2) | instskip(NEXT) | instid1(VALU_DEP_1)
	v_cndmask_b32_e32 v11, v11, v15, vcc_lo
	v_dual_cndmask_b32 v3, v14, v3, vcc_lo :: v_dual_bitop2_b32 v14, v11, v12 bitop3:0x14
	s_delay_alu instid0(VALU_DEP_1) | instskip(NEXT) | instid1(VALU_DEP_1)
	v_xor_b32_e32 v15, v3, v12
	v_sub_nc_u64_e32 v[12:13], v[14:15], v[12:13]
.LBB3_9:                                ;   in Loop: Header=BB3_3 Depth=1
	s_and_not1_saveexec_b32 s0, s55
	s_cbranch_execz .LBB3_11
; %bb.10:                               ;   in Loop: Header=BB3_3 Depth=1
	v_cvt_f32_u32_e32 v3, s8
	s_sub_co_i32 s34, 0, s8
	v_mov_b32_e32 v13, v2
	s_delay_alu instid0(VALU_DEP_2) | instskip(SKIP_1) | instid1(TRANS32_DEP_1)
	v_rcp_iflag_f32_e32 v3, v3
	v_nop
	v_mul_f32_e32 v3, 0x4f7ffffe, v3
	s_delay_alu instid0(VALU_DEP_1) | instskip(NEXT) | instid1(VALU_DEP_1)
	v_cvt_u32_f32_e32 v3, v3
	v_mul_lo_u32 v11, s34, v3
	s_delay_alu instid0(VALU_DEP_1) | instskip(NEXT) | instid1(VALU_DEP_1)
	v_mul_hi_u32 v11, v3, v11
	v_add_nc_u32_e32 v3, v3, v11
	s_delay_alu instid0(VALU_DEP_1) | instskip(NEXT) | instid1(VALU_DEP_1)
	v_mul_hi_u32 v3, v8, v3
	v_mul_lo_u32 v3, v3, s8
	s_delay_alu instid0(VALU_DEP_1) | instskip(NEXT) | instid1(VALU_DEP_1)
	v_sub_nc_u32_e32 v3, v8, v3
	v_subrev_nc_u32_e32 v11, s8, v3
	v_cmp_le_u32_e32 vcc_lo, s8, v3
	s_delay_alu instid0(VALU_DEP_2) | instskip(NEXT) | instid1(VALU_DEP_1)
	v_cndmask_b32_e32 v3, v3, v11, vcc_lo
	v_subrev_nc_u32_e32 v11, s8, v3
	v_cmp_le_u32_e32 vcc_lo, s8, v3
	s_delay_alu instid0(VALU_DEP_2)
	v_cndmask_b32_e32 v12, v3, v11, vcc_lo
.LBB3_11:                               ;   in Loop: Header=BB3_3 Depth=1
	s_or_b32 exec_lo, exec_lo, s0
	v_or_b32_e32 v3, s53, v7
                                        ; implicit-def: $vgpr14_vgpr15
	s_mov_b32 s0, exec_lo
	s_delay_alu instid0(VALU_DEP_1)
	v_cmpx_ne_u64_e32 0, v[2:3]
	s_xor_b32 s55, exec_lo, s0
	s_cbranch_execz .LBB3_13
; %bb.12:                               ;   in Loop: Header=BB3_3 Depth=1
	s_ashr_i32 s56, s53, 31
	v_dual_mov_b32 v11, v10 :: v_dual_mov_b32 v19, v2
	s_mov_b32 s57, s56
	v_mov_b32_e32 v27, v2
	s_add_nc_u64 s[58:59], s[52:53], s[56:57]
	s_delay_alu instid0(VALU_DEP_2)
	v_add_nc_u64_e32 v[14:15], v[6:7], v[10:11]
	s_xor_b64 s[58:59], s[58:59], s[56:57]
	v_mov_b32_e32 v23, v2
	s_cvt_f32_u32 s0, s58
	s_cvt_f32_u32 s34, s59
	s_sub_nc_u64 s[64:65], 0, s[58:59]
	s_delay_alu instid0(VALU_DEP_2) | instskip(NEXT) | instid1(SALU_CYCLE_1)
	v_xor_b32_e32 v18, v14, v10
	s_fmamk_f32 s0, s34, 0x4f800000, s0
	v_xor_b32_e32 v22, v15, v10
	v_xor_b32_e32 v10, s56, v10
	s_delay_alu instid0(SALU_CYCLE_1) | instskip(NEXT) | instid1(TRANS32_DEP_1)
	v_s_rcp_f32 s0, s0
	s_mul_f32 s0, s0, 0x5f7ffffc
	s_delay_alu instid0(SALU_CYCLE_3) | instskip(NEXT) | instid1(SALU_CYCLE_3)
	s_mul_f32 s34, s0, 0x2f800000
	s_trunc_f32 s34, s34
	s_delay_alu instid0(SALU_CYCLE_3) | instskip(SKIP_1) | instid1(SALU_CYCLE_2)
	s_fmamk_f32 s0, s34, 0xcf800000, s0
	s_cvt_u32_f32 s63, s34
	s_cvt_u32_f32 s62, s0
	s_delay_alu instid0(SALU_CYCLE_3) | instskip(NEXT) | instid1(SALU_CYCLE_1)
	s_mul_u64 s[66:67], s[64:65], s[62:63]
	s_mul_hi_u32 s69, s62, s67
	s_mul_i32 s68, s62, s67
	s_mul_hi_u32 s34, s62, s66
	s_mul_i32 s57, s63, s66
	s_add_nc_u64 s[68:69], s[34:35], s[68:69]
	s_mul_hi_u32 s0, s63, s66
	s_mul_hi_u32 s70, s63, s67
	s_add_co_u32 s34, s68, s57
	s_add_co_ci_u32 s34, s69, s0
	s_mul_i32 s66, s63, s67
	s_add_co_ci_u32 s67, s70, 0
	s_delay_alu instid0(SALU_CYCLE_1) | instskip(NEXT) | instid1(SALU_CYCLE_1)
	s_add_nc_u64 s[66:67], s[34:35], s[66:67]
	s_add_co_u32 s62, s62, s66
	s_cselect_b32 s0, -1, 0
	s_delay_alu instid0(SALU_CYCLE_1) | instskip(SKIP_1) | instid1(SALU_CYCLE_1)
	s_cmp_lg_u32 s0, 0
	s_add_co_ci_u32 s63, s63, s67
	s_mul_u64 s[64:65], s[64:65], s[62:63]
	s_delay_alu instid0(SALU_CYCLE_1)
	s_mul_hi_u32 s67, s62, s65
	s_mul_i32 s66, s62, s65
	s_mul_hi_u32 s34, s62, s64
	s_mul_i32 s57, s63, s64
	s_add_nc_u64 s[66:67], s[34:35], s[66:67]
	s_mul_hi_u32 s0, s63, s64
	s_mul_hi_u32 s68, s63, s65
	s_add_co_u32 s34, s66, s57
	s_add_co_ci_u32 s34, s67, s0
	s_mul_i32 s64, s63, s65
	s_add_co_ci_u32 s65, s68, 0
	s_delay_alu instid0(SALU_CYCLE_1) | instskip(NEXT) | instid1(SALU_CYCLE_1)
	s_add_nc_u64 s[64:65], s[34:35], s[64:65]
	s_add_co_u32 s0, s62, s64
	s_cselect_b32 s34, -1, 0
	v_nop
	v_mul_hi_u32 v26, v18, s0
	s_cmp_lg_u32 s34, 0
	s_add_co_ci_u32 s34, s63, s65
	s_and_b64 s[62:63], s[0:1], s[50:51]
	v_mul_u64_e32 v[20:21], s[34:35], v[18:19]
	v_mul_u64_e32 v[14:15], s[62:63], v[22:23]
	;; [unrolled: 1-line block ×3, first 2 shown]
	s_delay_alu instid0(VALU_DEP_3) | instskip(NEXT) | instid1(VALU_DEP_1)
	v_add_nc_u64_e32 v[20:21], v[26:27], v[20:21]
	v_add_co_u32 v3, vcc_lo, v20, v14
	s_delay_alu instid0(VALU_DEP_2) | instskip(NEXT) | instid1(VALU_DEP_4)
	v_add_co_ci_u32_e32 v26, vcc_lo, v21, v15, vcc_lo
	v_add_co_ci_u32_e32 v25, vcc_lo, 0, v25, vcc_lo
	s_delay_alu instid0(VALU_DEP_1) | instskip(NEXT) | instid1(VALU_DEP_1)
	v_add_nc_u64_e32 v[14:15], v[26:27], v[24:25]
	v_mul_u64_e32 v[20:21], s[58:59], v[14:15]
	s_delay_alu instid0(VALU_DEP_1) | instskip(NEXT) | instid1(VALU_DEP_2)
	v_sub_nc_u32_e32 v3, v22, v21
	v_sub_co_u32 v11, vcc_lo, v18, v20
	s_delay_alu instid0(VALU_DEP_1) | instskip(NEXT) | instid1(VALU_DEP_3)
	v_sub_co_ci_u32_e64 v22, null, v22, v21, vcc_lo
	v_subrev_co_ci_u32_e64 v3, null, s59, v3, vcc_lo
	s_delay_alu instid0(VALU_DEP_3) | instskip(SKIP_1) | instid1(VALU_DEP_3)
	v_sub_co_u32 v17, s0, v11, s58
	v_add_nc_u64_e32 v[20:21], 1, v[14:15]
	v_subrev_co_ci_u32_e64 v3, null, 0, v3, s0
	s_delay_alu instid0(VALU_DEP_3) | instskip(SKIP_1) | instid1(VALU_DEP_3)
	v_cmp_le_u32_e32 vcc_lo, s58, v17
	v_cndmask_b32_e64 v17, 0, -1, vcc_lo
	v_cmp_le_u32_e32 vcc_lo, s59, v3
	v_cndmask_b32_e64 v18, 0, -1, vcc_lo
	;; [unrolled: 2-line block ×4, first 2 shown]
	v_cmp_eq_u32_e32 vcc_lo, s59, v3
	v_cndmask_b32_e32 v3, v18, v17, vcc_lo
	v_cmp_eq_u32_e32 vcc_lo, s59, v22
	v_add_nc_u64_e32 v[18:19], 2, v[14:15]
	v_cndmask_b32_e32 v11, v23, v11, vcc_lo
	s_delay_alu instid0(VALU_DEP_4) | instskip(NEXT) | instid1(VALU_DEP_2)
	v_cmp_ne_u32_e32 vcc_lo, 0, v3
	v_cmp_ne_u32_e64 s0, 0, v11
	s_delay_alu instid0(VALU_DEP_4) | instskip(NEXT) | instid1(VALU_DEP_1)
	v_dual_cndmask_b32 v3, v21, v19, vcc_lo :: v_dual_cndmask_b32 v11, v20, v18, vcc_lo
	v_cndmask_b32_e64 v3, v15, v3, s0
	s_delay_alu instid0(VALU_DEP_2) | instskip(NEXT) | instid1(VALU_DEP_2)
	v_cndmask_b32_e64 v14, v14, v11, s0
	v_dual_mov_b32 v11, v10 :: v_dual_bitop2_b32 v15, v3, v10 bitop3:0x14
	s_delay_alu instid0(VALU_DEP_2) | instskip(NEXT) | instid1(VALU_DEP_1)
	v_xor_b32_e32 v14, v14, v10
	v_sub_nc_u64_e32 v[14:15], v[14:15], v[10:11]
.LBB3_13:                               ;   in Loop: Header=BB3_3 Depth=1
	s_and_not1_saveexec_b32 s0, s55
	s_cbranch_execz .LBB3_15
; %bb.14:                               ;   in Loop: Header=BB3_3 Depth=1
	v_cvt_f32_u32_e32 v3, s52
	s_sub_co_i32 s34, 0, s52
	v_mov_b32_e32 v15, v2
	s_delay_alu instid0(VALU_DEP_2) | instskip(SKIP_1) | instid1(TRANS32_DEP_1)
	v_rcp_iflag_f32_e32 v3, v3
	v_nop
	v_mul_f32_e32 v3, 0x4f7ffffe, v3
	s_delay_alu instid0(VALU_DEP_1) | instskip(NEXT) | instid1(VALU_DEP_1)
	v_cvt_u32_f32_e32 v3, v3
	v_mul_lo_u32 v10, s34, v3
	s_delay_alu instid0(VALU_DEP_1) | instskip(NEXT) | instid1(VALU_DEP_1)
	v_mul_hi_u32 v10, v3, v10
	v_add_nc_u32_e32 v3, v3, v10
	s_delay_alu instid0(VALU_DEP_1) | instskip(NEXT) | instid1(VALU_DEP_1)
	v_mul_hi_u32 v3, v5, v3
	v_mul_lo_u32 v10, v3, s52
	s_delay_alu instid0(VALU_DEP_1) | instskip(NEXT) | instid1(VALU_DEP_1)
	v_sub_nc_u32_e32 v10, v5, v10
	v_subrev_nc_u32_e32 v14, s52, v10
	v_cmp_le_u32_e32 vcc_lo, s52, v10
	s_delay_alu instid0(VALU_DEP_2) | instskip(NEXT) | instid1(VALU_DEP_1)
	v_dual_cndmask_b32 v10, v10, v14 :: v_dual_add_nc_u32 v11, 1, v3
	v_cndmask_b32_e32 v3, v3, v11, vcc_lo
	s_delay_alu instid0(VALU_DEP_2) | instskip(NEXT) | instid1(VALU_DEP_2)
	v_cmp_le_u32_e32 vcc_lo, s52, v10
	v_add_nc_u32_e32 v11, 1, v3
	s_delay_alu instid0(VALU_DEP_1)
	v_cndmask_b32_e32 v14, v3, v11, vcc_lo
.LBB3_15:                               ;   in Loop: Header=BB3_3 Depth=1
	s_or_b32 exec_lo, exec_lo, s0
	s_delay_alu instid0(VALU_DEP_1) | instskip(SKIP_1) | instid1(VALU_DEP_1)
	v_or_b32_e32 v3, s11, v15
                                        ; implicit-def: $vgpr10_vgpr11
	s_mov_b32 s0, exec_lo
	v_cmpx_ne_u64_e32 0, v[2:3]
	s_xor_b32 s55, exec_lo, s0
	s_cbranch_execz .LBB3_17
; %bb.16:                               ;   in Loop: Header=BB3_3 Depth=1
	s_ashr_i32 s56, s11, 31
	v_dual_mov_b32 v19, v2 :: v_dual_ashrrev_i32 v10, 31, v15
	s_mov_b32 s57, s56
	v_mov_b32_e32 v23, v2
	s_add_nc_u64 s[58:59], s[10:11], s[56:57]
	s_delay_alu instid0(VALU_DEP_2)
	v_mov_b32_e32 v11, v10
	s_xor_b64 s[56:57], s[58:59], s[56:57]
	v_mov_b32_e32 v27, v2
	s_cvt_f32_u32 s0, s56
	s_cvt_f32_u32 s34, s57
	s_sub_nc_u64 s[62:63], 0, s[56:57]
	v_add_nc_u64_e32 v[14:15], v[14:15], v[10:11]
	s_delay_alu instid0(SALU_CYCLE_1) | instskip(NEXT) | instid1(SALU_CYCLE_3)
	s_fmamk_f32 s0, s34, 0x4f800000, s0
	v_s_rcp_f32 s0, s0
	s_delay_alu instid0(VALU_DEP_1) | instskip(NEXT) | instid1(VALU_DEP_2)
	v_xor_b32_e32 v18, v14, v10
	v_xor_b32_e32 v22, v15, v10
	s_delay_alu instid0(TRANS32_DEP_1) | instskip(NEXT) | instid1(SALU_CYCLE_3)
	s_mul_f32 s0, s0, 0x5f7ffffc
	s_mul_f32 s34, s0, 0x2f800000
	s_delay_alu instid0(SALU_CYCLE_3) | instskip(NEXT) | instid1(SALU_CYCLE_3)
	s_trunc_f32 s34, s34
	s_fmamk_f32 s0, s34, 0xcf800000, s0
	s_cvt_u32_f32 s59, s34
	s_delay_alu instid0(SALU_CYCLE_2) | instskip(NEXT) | instid1(SALU_CYCLE_3)
	s_cvt_u32_f32 s58, s0
	s_mul_u64 s[64:65], s[62:63], s[58:59]
	s_delay_alu instid0(SALU_CYCLE_1)
	s_mul_hi_u32 s67, s58, s65
	s_mul_i32 s66, s58, s65
	s_mul_hi_u32 s34, s58, s64
	s_mul_i32 s68, s59, s64
	s_add_nc_u64 s[66:67], s[34:35], s[66:67]
	s_mul_hi_u32 s0, s59, s64
	s_mul_hi_u32 s69, s59, s65
	s_add_co_u32 s34, s66, s68
	s_add_co_ci_u32 s34, s67, s0
	s_mul_i32 s64, s59, s65
	s_add_co_ci_u32 s65, s69, 0
	s_delay_alu instid0(SALU_CYCLE_1) | instskip(NEXT) | instid1(SALU_CYCLE_1)
	s_add_nc_u64 s[64:65], s[34:35], s[64:65]
	s_add_co_u32 s58, s58, s64
	s_cselect_b32 s0, -1, 0
	s_delay_alu instid0(SALU_CYCLE_1) | instskip(SKIP_1) | instid1(SALU_CYCLE_1)
	s_cmp_lg_u32 s0, 0
	s_add_co_ci_u32 s59, s59, s65
	s_mul_u64 s[62:63], s[62:63], s[58:59]
	s_delay_alu instid0(SALU_CYCLE_1)
	s_mul_hi_u32 s65, s58, s63
	s_mul_i32 s64, s58, s63
	s_mul_hi_u32 s34, s58, s62
	s_mul_i32 s66, s59, s62
	s_add_nc_u64 s[64:65], s[34:35], s[64:65]
	s_mul_hi_u32 s0, s59, s62
	s_mul_hi_u32 s67, s59, s63
	s_add_co_u32 s34, s64, s66
	s_add_co_ci_u32 s34, s65, s0
	s_mul_i32 s62, s59, s63
	s_add_co_ci_u32 s63, s67, 0
	s_delay_alu instid0(SALU_CYCLE_1) | instskip(NEXT) | instid1(SALU_CYCLE_1)
	s_add_nc_u64 s[62:63], s[34:35], s[62:63]
	s_add_co_u32 s0, s58, s62
	s_cselect_b32 s34, -1, 0
	v_mul_hi_u32 v26, v18, s0
	s_cmp_lg_u32 s34, 0
	s_add_co_ci_u32 s34, s59, s63
	s_and_b64 s[58:59], s[0:1], s[50:51]
	v_mul_u64_e32 v[20:21], s[34:35], v[18:19]
	v_mul_u64_e32 v[14:15], s[58:59], v[22:23]
	;; [unrolled: 1-line block ×3, first 2 shown]
	s_delay_alu instid0(VALU_DEP_3) | instskip(NEXT) | instid1(VALU_DEP_1)
	v_add_nc_u64_e32 v[20:21], v[26:27], v[20:21]
	v_add_co_u32 v3, vcc_lo, v20, v14
	s_delay_alu instid0(VALU_DEP_2) | instskip(NEXT) | instid1(VALU_DEP_4)
	v_add_co_ci_u32_e32 v26, vcc_lo, v21, v15, vcc_lo
	v_add_co_ci_u32_e32 v25, vcc_lo, 0, v25, vcc_lo
	s_delay_alu instid0(VALU_DEP_1) | instskip(NEXT) | instid1(VALU_DEP_1)
	v_add_nc_u64_e32 v[14:15], v[26:27], v[24:25]
	v_mul_u64_e32 v[14:15], s[56:57], v[14:15]
	s_delay_alu instid0(VALU_DEP_1) | instskip(NEXT) | instid1(VALU_DEP_2)
	v_sub_nc_u32_e32 v3, v22, v15
	v_sub_co_u32 v14, vcc_lo, v18, v14
	s_delay_alu instid0(VALU_DEP_1) | instskip(NEXT) | instid1(VALU_DEP_3)
	v_sub_co_ci_u32_e64 v15, null, v22, v15, vcc_lo
	v_subrev_co_ci_u32_e64 v3, null, s57, v3, vcc_lo
	s_delay_alu instid0(VALU_DEP_3) | instskip(SKIP_1) | instid1(VALU_DEP_3)
	v_sub_co_u32 v17, vcc_lo, v14, s56
	v_cmp_le_u32_e64 s0, s56, v14
	v_subrev_co_ci_u32_e64 v18, null, 0, v3, vcc_lo
	v_subrev_co_ci_u32_e64 v3, null, s57, v3, vcc_lo
	s_delay_alu instid0(VALU_DEP_3) | instskip(SKIP_2) | instid1(VALU_DEP_2)
	v_cndmask_b32_e64 v19, 0, -1, s0
	v_cmp_le_u32_e64 s0, s56, v17
	v_cmp_le_u32_e32 vcc_lo, s57, v15
	v_cndmask_b32_e64 v20, 0, -1, s0
	v_cmp_le_u32_e64 s0, s57, v18
	v_cndmask_b32_e64 v22, 0, -1, vcc_lo
	v_cmp_eq_u32_e32 vcc_lo, s57, v18
	s_delay_alu instid0(VALU_DEP_3) | instskip(SKIP_1) | instid1(VALU_DEP_2)
	v_cndmask_b32_e64 v21, 0, -1, s0
	v_cmp_eq_u32_e64 s0, s57, v15
	v_cndmask_b32_e32 v20, v21, v20, vcc_lo
	v_sub_co_u32 v21, vcc_lo, v17, s56
	s_delay_alu instid0(VALU_DEP_1) | instskip(NEXT) | instid1(VALU_DEP_3)
	v_subrev_co_ci_u32_e64 v3, null, 0, v3, vcc_lo
	v_cmp_ne_u32_e32 vcc_lo, 0, v20
	v_cndmask_b32_e64 v19, v22, v19, s0
	s_delay_alu instid0(VALU_DEP_3) | instskip(NEXT) | instid1(VALU_DEP_2)
	v_dual_cndmask_b32 v3, v18, v3, vcc_lo :: v_dual_cndmask_b32 v17, v17, v21, vcc_lo
	v_cmp_ne_u32_e32 vcc_lo, 0, v19
	s_delay_alu instid0(VALU_DEP_2) | instskip(NEXT) | instid1(VALU_DEP_1)
	v_dual_cndmask_b32 v3, v15, v3 :: v_dual_cndmask_b32 v14, v14, v17
	v_xor_b32_e32 v15, v3, v10
	s_delay_alu instid0(VALU_DEP_2) | instskip(NEXT) | instid1(VALU_DEP_1)
	v_xor_b32_e32 v14, v14, v10
	v_sub_nc_u64_e32 v[10:11], v[14:15], v[10:11]
                                        ; implicit-def: $vgpr14_vgpr15
.LBB3_17:                               ;   in Loop: Header=BB3_3 Depth=1
	s_and_not1_saveexec_b32 s0, s55
	s_cbranch_execz .LBB3_19
; %bb.18:                               ;   in Loop: Header=BB3_3 Depth=1
	v_cvt_f32_u32_e32 v3, s10
	s_sub_co_i32 s34, 0, s10
	v_mov_b32_e32 v11, v2
	s_delay_alu instid0(VALU_DEP_2) | instskip(SKIP_1) | instid1(TRANS32_DEP_1)
	v_rcp_iflag_f32_e32 v3, v3
	v_nop
	v_mul_f32_e32 v3, 0x4f7ffffe, v3
	s_delay_alu instid0(VALU_DEP_1) | instskip(NEXT) | instid1(VALU_DEP_1)
	v_cvt_u32_f32_e32 v3, v3
	v_mul_lo_u32 v10, s34, v3
	s_delay_alu instid0(VALU_DEP_1) | instskip(NEXT) | instid1(VALU_DEP_1)
	v_mul_hi_u32 v10, v3, v10
	v_add_nc_u32_e32 v3, v3, v10
	s_delay_alu instid0(VALU_DEP_1) | instskip(NEXT) | instid1(VALU_DEP_1)
	v_mul_hi_u32 v3, v14, v3
	v_mul_lo_u32 v3, v3, s10
	s_delay_alu instid0(VALU_DEP_1) | instskip(NEXT) | instid1(VALU_DEP_1)
	v_sub_nc_u32_e32 v3, v14, v3
	v_subrev_nc_u32_e32 v10, s10, v3
	v_cmp_le_u32_e32 vcc_lo, s10, v3
	s_delay_alu instid0(VALU_DEP_2) | instskip(NEXT) | instid1(VALU_DEP_1)
	v_cndmask_b32_e32 v3, v3, v10, vcc_lo
	v_subrev_nc_u32_e32 v10, s10, v3
	v_cmp_le_u32_e32 vcc_lo, s10, v3
	s_delay_alu instid0(VALU_DEP_2)
	v_cndmask_b32_e32 v10, v3, v10, vcc_lo
.LBB3_19:                               ;   in Loop: Header=BB3_3 Depth=1
	s_or_b32 exec_lo, exec_lo, s0
	v_mul_u64_e32 v[8:9], s[4:5], v[8:9]
	v_mul_u64_e32 v[14:15], s[22:23], v[12:13]
	s_delay_alu instid0(VALU_DEP_3) | instskip(SKIP_4) | instid1(VALU_DEP_4)
	v_mul_u64_e32 v[18:19], s[24:25], v[10:11]
	v_mov_b32_e32 v3, 0
	s_mov_b32 s34, -1
	s_mov_b32 s56, -1
	s_mov_b32 s55, exec_lo
	v_sub_nc_u64_e32 v[6:7], v[6:7], v[8:9]
	s_delay_alu instid0(VALU_DEP_1) | instskip(NEXT) | instid1(VALU_DEP_1)
	v_mul_u64_e32 v[8:9], s[20:21], v[6:7]
	v_lshl_add_u64 v[8:9], v[8:9], 3, s[42:43]
	s_delay_alu instid0(VALU_DEP_1) | instskip(NEXT) | instid1(VALU_DEP_1)
	v_lshl_add_u64 v[8:9], v[14:15], 3, v[8:9]
	v_lshl_add_u64 v[8:9], v[18:19], 3, v[8:9]
	global_load_b64 v[8:9], v[8:9], off
	s_wait_loadcnt 0x0
	s_wait_xcnt 0x0
	v_cmpx_ne_u64_e64 s[30:31], v[8:9]
	s_cbranch_execz .LBB3_26
; %bb.20:                               ;   in Loop: Header=BB3_3 Depth=1
	v_cmp_lt_i64_e32 vcc_lo, -1, v[8:9]
	v_cmp_gt_i64_e64 s0, s[6:7], v[8:9]
	v_mov_b32_e32 v3, 0
	s_mov_b32 s56, 0
	s_and_b32 s57, vcc_lo, s0
	s_delay_alu instid0(SALU_CYCLE_1)
	s_and_saveexec_b32 s0, s57
	s_cbranch_execz .LBB3_25
; %bb.21:                               ;   in Loop: Header=BB3_3 Depth=1
	v_mul_u64_e32 v[14:15], s[12:13], v[6:7]
	v_mul_u64_e32 v[18:19], s[14:15], v[8:9]
	;; [unrolled: 1-line block ×4, first 2 shown]
	s_and_not1_b32 vcc_lo, exec_lo, s1
	s_delay_alu instid0(VALU_DEP_4) | instskip(NEXT) | instid1(VALU_DEP_1)
	v_lshl_add_u64 v[14:15], v[14:15], 1, s[40:41]
	v_lshl_add_u64 v[14:15], v[18:19], 1, v[14:15]
	s_delay_alu instid0(VALU_DEP_1) | instskip(NEXT) | instid1(VALU_DEP_1)
	v_lshl_add_u64 v[14:15], v[20:21], 1, v[14:15]
	v_lshl_add_u64 v[14:15], v[22:23], 1, v[14:15]
	global_load_u16 v3, v[14:15], off
	s_cbranch_vccnz .LBB3_23
; %bb.22:                               ;   in Loop: Header=BB3_3 Depth=1
	v_lshl_add_u64 v[8:9], v[8:9], 1, s[28:29]
	global_load_u16 v8, v[8:9], off
	s_wait_loadcnt 0x0
	s_wait_xcnt 0x0
	v_lshlrev_b32_e32 v8, 16, v8
	s_branch .LBB3_24
.LBB3_23:                               ;   in Loop: Header=BB3_3 Depth=1
	v_mov_b32_e32 v8, 1.0
.LBB3_24:                               ;   in Loop: Header=BB3_3 Depth=1
	s_wait_loadcnt 0x0
	v_lshlrev_b32_e32 v3, 16, v3
	s_mov_b32 s56, exec_lo
	s_delay_alu instid0(VALU_DEP_1) | instskip(SKIP_2) | instid1(VALU_DEP_2)
	v_xor_b32_e32 v9, 0x80000000, v3
	v_cmp_o_f32_e32 vcc_lo, v3, v3
	s_wait_xcnt 0x0
	v_bfe_u32 v14, v9, 16, 1
	s_delay_alu instid0(VALU_DEP_1) | instskip(NEXT) | instid1(VALU_DEP_1)
	v_add3_u32 v9, v9, v14, 0x7fff
	v_and_b32_e32 v9, 0xffff0000, v9
	s_delay_alu instid0(VALU_DEP_1) | instskip(NEXT) | instid1(VALU_DEP_1)
	v_cndmask_b32_e32 v3, 0x7fc00000, v9, vcc_lo
	v_mul_f32_e32 v3, v3, v8
	s_delay_alu instid0(VALU_DEP_1) | instskip(SKIP_1) | instid1(VALU_DEP_2)
	v_bfe_u32 v8, v3, 16, 1
	v_cmp_o_f32_e32 vcc_lo, v3, v3
	v_add3_u32 v8, v3, v8, 0x7fff
	s_delay_alu instid0(VALU_DEP_1) | instskip(NEXT) | instid1(VALU_DEP_1)
	v_lshrrev_b32_e32 v8, 16, v8
	v_cndmask_b32_e32 v3, 0x7fc0, v8, vcc_lo
.LBB3_25:                               ;   in Loop: Header=BB3_3 Depth=1
	s_or_b32 exec_lo, exec_lo, s0
	s_delay_alu instid0(SALU_CYCLE_1)
	s_or_not1_b32 s56, s56, exec_lo
.LBB3_26:                               ;   in Loop: Header=BB3_3 Depth=1
	s_or_b32 exec_lo, exec_lo, s55
	s_delay_alu instid0(SALU_CYCLE_1)
	s_or_b32 s61, s61, exec_lo
	s_and_saveexec_b32 s0, s56
	s_cbranch_execz .LBB3_2
; %bb.27:                               ;   in Loop: Header=BB3_3 Depth=1
	v_mul_u64_e32 v[6:7], s[36:37], v[6:7]
	v_mul_u64_e32 v[8:9], s[38:39], v[12:13]
	;; [unrolled: 1-line block ×3, first 2 shown]
	v_add_nc_u64_e32 v[0:1], s[46:47], v[0:1]
	v_add_nc_u64_e32 v[4:5], s[48:49], v[4:5]
	s_and_not1_b32 s61, s61, exec_lo
	s_delay_alu instid0(VALU_DEP_2) | instskip(SKIP_2) | instid1(VALU_DEP_1)
	v_cmp_le_i64_e32 vcc_lo, s[2:3], v[0:1]
	s_or_not1_b32 s34, vcc_lo, exec_lo
	v_lshl_add_u64 v[6:7], v[6:7], 1, s[26:27]
	v_lshl_add_u64 v[6:7], v[8:9], 1, v[6:7]
	s_delay_alu instid0(VALU_DEP_1)
	v_lshl_add_u64 v[6:7], v[10:11], 1, v[6:7]
	global_store_b16 v[6:7], v3, off
	s_branch .LBB3_2
.LBB3_28:
	s_or_b32 exec_lo, exec_lo, s33
	s_and_saveexec_b32 s0, s60
	s_delay_alu instid0(SALU_CYCLE_1)
	s_xor_b32 s0, exec_lo, s0
	s_cbranch_execnz .LBB3_30
.LBB3_29:
	s_endpgm
.LBB3_30:
	s_trap 2
	; divergent unreachable
	s_endpgm
	.section	.rodata,"a",@progbits
	.p2align	6, 0x0
	.amdhsa_kernel _ZN2at6native12_GLOBAL__N_135nll_loss2d_forward_no_reduce_kernelIN3c108BFloat16EEEvlN5torch10headeronly6detail27GenericPackedTensorAccessorINS7_14TensorAccessorINS3_8ArrayRefIlEET_Lm3ENS6_16DefaultPtrTraitsElEENS_6detail16IndexBoundsCheckILm4ElEESC_Lm4ESD_lEENS8_INS9_ISB_lLm2ESD_lEENSG_ILm3ElEElLm3ESD_lEENS8_INS9_ISB_SC_Lm2ESD_lEESK_SC_Lm3ESD_lEEPKSC_l
		.amdhsa_group_segment_fixed_size 0
		.amdhsa_private_segment_fixed_size 0
		.amdhsa_kernarg_size 464
		.amdhsa_user_sgpr_count 2
		.amdhsa_user_sgpr_dispatch_ptr 0
		.amdhsa_user_sgpr_queue_ptr 0
		.amdhsa_user_sgpr_kernarg_segment_ptr 1
		.amdhsa_user_sgpr_dispatch_id 0
		.amdhsa_user_sgpr_kernarg_preload_length 0
		.amdhsa_user_sgpr_kernarg_preload_offset 0
		.amdhsa_user_sgpr_private_segment_size 0
		.amdhsa_wavefront_size32 1
		.amdhsa_uses_dynamic_stack 0
		.amdhsa_enable_private_segment 0
		.amdhsa_system_sgpr_workgroup_id_x 1
		.amdhsa_system_sgpr_workgroup_id_y 0
		.amdhsa_system_sgpr_workgroup_id_z 0
		.amdhsa_system_sgpr_workgroup_info 0
		.amdhsa_system_vgpr_workitem_id 0
		.amdhsa_next_free_vgpr 28
		.amdhsa_next_free_sgpr 71
		.amdhsa_named_barrier_count 0
		.amdhsa_reserve_vcc 1
		.amdhsa_float_round_mode_32 0
		.amdhsa_float_round_mode_16_64 0
		.amdhsa_float_denorm_mode_32 3
		.amdhsa_float_denorm_mode_16_64 3
		.amdhsa_fp16_overflow 0
		.amdhsa_memory_ordered 1
		.amdhsa_forward_progress 1
		.amdhsa_inst_pref_size 30
		.amdhsa_round_robin_scheduling 0
		.amdhsa_exception_fp_ieee_invalid_op 0
		.amdhsa_exception_fp_denorm_src 0
		.amdhsa_exception_fp_ieee_div_zero 0
		.amdhsa_exception_fp_ieee_overflow 0
		.amdhsa_exception_fp_ieee_underflow 0
		.amdhsa_exception_fp_ieee_inexact 0
		.amdhsa_exception_int_div_zero 0
	.end_amdhsa_kernel
	.section	.text._ZN2at6native12_GLOBAL__N_135nll_loss2d_forward_no_reduce_kernelIN3c108BFloat16EEEvlN5torch10headeronly6detail27GenericPackedTensorAccessorINS7_14TensorAccessorINS3_8ArrayRefIlEET_Lm3ENS6_16DefaultPtrTraitsElEENS_6detail16IndexBoundsCheckILm4ElEESC_Lm4ESD_lEENS8_INS9_ISB_lLm2ESD_lEENSG_ILm3ElEElLm3ESD_lEENS8_INS9_ISB_SC_Lm2ESD_lEESK_SC_Lm3ESD_lEEPKSC_l,"axG",@progbits,_ZN2at6native12_GLOBAL__N_135nll_loss2d_forward_no_reduce_kernelIN3c108BFloat16EEEvlN5torch10headeronly6detail27GenericPackedTensorAccessorINS7_14TensorAccessorINS3_8ArrayRefIlEET_Lm3ENS6_16DefaultPtrTraitsElEENS_6detail16IndexBoundsCheckILm4ElEESC_Lm4ESD_lEENS8_INS9_ISB_lLm2ESD_lEENSG_ILm3ElEElLm3ESD_lEENS8_INS9_ISB_SC_Lm2ESD_lEESK_SC_Lm3ESD_lEEPKSC_l,comdat
.Lfunc_end3:
	.size	_ZN2at6native12_GLOBAL__N_135nll_loss2d_forward_no_reduce_kernelIN3c108BFloat16EEEvlN5torch10headeronly6detail27GenericPackedTensorAccessorINS7_14TensorAccessorINS3_8ArrayRefIlEET_Lm3ENS6_16DefaultPtrTraitsElEENS_6detail16IndexBoundsCheckILm4ElEESC_Lm4ESD_lEENS8_INS9_ISB_lLm2ESD_lEENSG_ILm3ElEElLm3ESD_lEENS8_INS9_ISB_SC_Lm2ESD_lEESK_SC_Lm3ESD_lEEPKSC_l, .Lfunc_end3-_ZN2at6native12_GLOBAL__N_135nll_loss2d_forward_no_reduce_kernelIN3c108BFloat16EEEvlN5torch10headeronly6detail27GenericPackedTensorAccessorINS7_14TensorAccessorINS3_8ArrayRefIlEET_Lm3ENS6_16DefaultPtrTraitsElEENS_6detail16IndexBoundsCheckILm4ElEESC_Lm4ESD_lEENS8_INS9_ISB_lLm2ESD_lEENSG_ILm3ElEElLm3ESD_lEENS8_INS9_ISB_SC_Lm2ESD_lEESK_SC_Lm3ESD_lEEPKSC_l
                                        ; -- End function
	.set _ZN2at6native12_GLOBAL__N_135nll_loss2d_forward_no_reduce_kernelIN3c108BFloat16EEEvlN5torch10headeronly6detail27GenericPackedTensorAccessorINS7_14TensorAccessorINS3_8ArrayRefIlEET_Lm3ENS6_16DefaultPtrTraitsElEENS_6detail16IndexBoundsCheckILm4ElEESC_Lm4ESD_lEENS8_INS9_ISB_lLm2ESD_lEENSG_ILm3ElEElLm3ESD_lEENS8_INS9_ISB_SC_Lm2ESD_lEESK_SC_Lm3ESD_lEEPKSC_l.num_vgpr, 28
	.set _ZN2at6native12_GLOBAL__N_135nll_loss2d_forward_no_reduce_kernelIN3c108BFloat16EEEvlN5torch10headeronly6detail27GenericPackedTensorAccessorINS7_14TensorAccessorINS3_8ArrayRefIlEET_Lm3ENS6_16DefaultPtrTraitsElEENS_6detail16IndexBoundsCheckILm4ElEESC_Lm4ESD_lEENS8_INS9_ISB_lLm2ESD_lEENSG_ILm3ElEElLm3ESD_lEENS8_INS9_ISB_SC_Lm2ESD_lEESK_SC_Lm3ESD_lEEPKSC_l.num_agpr, 0
	.set _ZN2at6native12_GLOBAL__N_135nll_loss2d_forward_no_reduce_kernelIN3c108BFloat16EEEvlN5torch10headeronly6detail27GenericPackedTensorAccessorINS7_14TensorAccessorINS3_8ArrayRefIlEET_Lm3ENS6_16DefaultPtrTraitsElEENS_6detail16IndexBoundsCheckILm4ElEESC_Lm4ESD_lEENS8_INS9_ISB_lLm2ESD_lEENSG_ILm3ElEElLm3ESD_lEENS8_INS9_ISB_SC_Lm2ESD_lEESK_SC_Lm3ESD_lEEPKSC_l.numbered_sgpr, 71
	.set _ZN2at6native12_GLOBAL__N_135nll_loss2d_forward_no_reduce_kernelIN3c108BFloat16EEEvlN5torch10headeronly6detail27GenericPackedTensorAccessorINS7_14TensorAccessorINS3_8ArrayRefIlEET_Lm3ENS6_16DefaultPtrTraitsElEENS_6detail16IndexBoundsCheckILm4ElEESC_Lm4ESD_lEENS8_INS9_ISB_lLm2ESD_lEENSG_ILm3ElEElLm3ESD_lEENS8_INS9_ISB_SC_Lm2ESD_lEESK_SC_Lm3ESD_lEEPKSC_l.num_named_barrier, 0
	.set _ZN2at6native12_GLOBAL__N_135nll_loss2d_forward_no_reduce_kernelIN3c108BFloat16EEEvlN5torch10headeronly6detail27GenericPackedTensorAccessorINS7_14TensorAccessorINS3_8ArrayRefIlEET_Lm3ENS6_16DefaultPtrTraitsElEENS_6detail16IndexBoundsCheckILm4ElEESC_Lm4ESD_lEENS8_INS9_ISB_lLm2ESD_lEENSG_ILm3ElEElLm3ESD_lEENS8_INS9_ISB_SC_Lm2ESD_lEESK_SC_Lm3ESD_lEEPKSC_l.private_seg_size, 0
	.set _ZN2at6native12_GLOBAL__N_135nll_loss2d_forward_no_reduce_kernelIN3c108BFloat16EEEvlN5torch10headeronly6detail27GenericPackedTensorAccessorINS7_14TensorAccessorINS3_8ArrayRefIlEET_Lm3ENS6_16DefaultPtrTraitsElEENS_6detail16IndexBoundsCheckILm4ElEESC_Lm4ESD_lEENS8_INS9_ISB_lLm2ESD_lEENSG_ILm3ElEElLm3ESD_lEENS8_INS9_ISB_SC_Lm2ESD_lEESK_SC_Lm3ESD_lEEPKSC_l.uses_vcc, 1
	.set _ZN2at6native12_GLOBAL__N_135nll_loss2d_forward_no_reduce_kernelIN3c108BFloat16EEEvlN5torch10headeronly6detail27GenericPackedTensorAccessorINS7_14TensorAccessorINS3_8ArrayRefIlEET_Lm3ENS6_16DefaultPtrTraitsElEENS_6detail16IndexBoundsCheckILm4ElEESC_Lm4ESD_lEENS8_INS9_ISB_lLm2ESD_lEENSG_ILm3ElEElLm3ESD_lEENS8_INS9_ISB_SC_Lm2ESD_lEESK_SC_Lm3ESD_lEEPKSC_l.uses_flat_scratch, 0
	.set _ZN2at6native12_GLOBAL__N_135nll_loss2d_forward_no_reduce_kernelIN3c108BFloat16EEEvlN5torch10headeronly6detail27GenericPackedTensorAccessorINS7_14TensorAccessorINS3_8ArrayRefIlEET_Lm3ENS6_16DefaultPtrTraitsElEENS_6detail16IndexBoundsCheckILm4ElEESC_Lm4ESD_lEENS8_INS9_ISB_lLm2ESD_lEENSG_ILm3ElEElLm3ESD_lEENS8_INS9_ISB_SC_Lm2ESD_lEESK_SC_Lm3ESD_lEEPKSC_l.has_dyn_sized_stack, 0
	.set _ZN2at6native12_GLOBAL__N_135nll_loss2d_forward_no_reduce_kernelIN3c108BFloat16EEEvlN5torch10headeronly6detail27GenericPackedTensorAccessorINS7_14TensorAccessorINS3_8ArrayRefIlEET_Lm3ENS6_16DefaultPtrTraitsElEENS_6detail16IndexBoundsCheckILm4ElEESC_Lm4ESD_lEENS8_INS9_ISB_lLm2ESD_lEENSG_ILm3ElEElLm3ESD_lEENS8_INS9_ISB_SC_Lm2ESD_lEESK_SC_Lm3ESD_lEEPKSC_l.has_recursion, 0
	.set _ZN2at6native12_GLOBAL__N_135nll_loss2d_forward_no_reduce_kernelIN3c108BFloat16EEEvlN5torch10headeronly6detail27GenericPackedTensorAccessorINS7_14TensorAccessorINS3_8ArrayRefIlEET_Lm3ENS6_16DefaultPtrTraitsElEENS_6detail16IndexBoundsCheckILm4ElEESC_Lm4ESD_lEENS8_INS9_ISB_lLm2ESD_lEENSG_ILm3ElEElLm3ESD_lEENS8_INS9_ISB_SC_Lm2ESD_lEESK_SC_Lm3ESD_lEEPKSC_l.has_indirect_call, 0
	.section	.AMDGPU.csdata,"",@progbits
; Kernel info:
; codeLenInByte = 3812
; TotalNumSgprs: 73
; NumVgprs: 28
; ScratchSize: 0
; MemoryBound: 0
; FloatMode: 240
; IeeeMode: 1
; LDSByteSize: 0 bytes/workgroup (compile time only)
; SGPRBlocks: 0
; VGPRBlocks: 1
; NumSGPRsForWavesPerEU: 73
; NumVGPRsForWavesPerEU: 28
; NamedBarCnt: 0
; Occupancy: 16
; WaveLimiterHint : 1
; COMPUTE_PGM_RSRC2:SCRATCH_EN: 0
; COMPUTE_PGM_RSRC2:USER_SGPR: 2
; COMPUTE_PGM_RSRC2:TRAP_HANDLER: 0
; COMPUTE_PGM_RSRC2:TGID_X_EN: 1
; COMPUTE_PGM_RSRC2:TGID_Y_EN: 0
; COMPUTE_PGM_RSRC2:TGID_Z_EN: 0
; COMPUTE_PGM_RSRC2:TIDIG_COMP_CNT: 0
	.section	.text._ZN2at6native12_GLOBAL__N_125nll_loss2d_forward_kernelIddiEEvPT_S4_PKS3_PKlS6_iiil,"axG",@progbits,_ZN2at6native12_GLOBAL__N_125nll_loss2d_forward_kernelIddiEEvPT_S4_PKS3_PKlS6_iiil,comdat
	.globl	_ZN2at6native12_GLOBAL__N_125nll_loss2d_forward_kernelIddiEEvPT_S4_PKS3_PKlS6_iiil ; -- Begin function _ZN2at6native12_GLOBAL__N_125nll_loss2d_forward_kernelIddiEEvPT_S4_PKS3_PKlS6_iiil
	.p2align	8
	.type	_ZN2at6native12_GLOBAL__N_125nll_loss2d_forward_kernelIddiEEvPT_S4_PKS3_PKlS6_iiil,@function
_ZN2at6native12_GLOBAL__N_125nll_loss2d_forward_kernelIddiEEvPT_S4_PKS3_PKlS6_iiil: ; @_ZN2at6native12_GLOBAL__N_125nll_loss2d_forward_kernelIddiEEvPT_S4_PKS3_PKlS6_iiil
; %bb.0:
	s_clause 0x1
	s_load_b96 s[12:14], s[0:1], 0x28
	s_load_b32 s15, s[0:1], 0x4c
	s_bfe_u32 s4, ttmp6, 0x4000c
	s_and_b32 s3, ttmp6, 15
	s_add_co_i32 s4, s4, 1
	s_getreg_b32 s6, hwreg(HW_REG_IB_STS2, 6, 4)
	s_mul_i32 s4, ttmp9, s4
	v_mov_b64_e32 v[6:7], 0
	s_add_co_i32 s3, s3, s4
	v_mov_b64_e32 v[8:9], 0
	s_mov_b32 s21, -1
	s_wait_kmcnt 0x0
	s_cvt_f32_u32 s2, s14
	s_sub_co_i32 s5, 0, s14
	s_delay_alu instid0(SALU_CYCLE_2) | instskip(SKIP_1) | instid1(TRANS32_DEP_1)
	v_rcp_iflag_f32_e32 v1, s2
	v_nop
	v_readfirstlane_b32 s2, v1
	s_mul_f32 s2, s2, 0x4f7ffffe
	s_delay_alu instid0(SALU_CYCLE_3) | instskip(NEXT) | instid1(SALU_CYCLE_3)
	s_cvt_u32_f32 s2, s2
	s_mul_i32 s5, s5, s2
	s_delay_alu instid0(SALU_CYCLE_1) | instskip(NEXT) | instid1(SALU_CYCLE_1)
	s_mul_hi_u32 s5, s2, s5
	s_add_co_i32 s2, s2, s5
	s_cmp_eq_u32 s6, 0
	s_cselect_b32 s16, ttmp9, s3
	s_delay_alu instid0(SALU_CYCLE_1)
	s_mul_hi_u32 s17, s16, s2
	s_load_b64 s[2:3], s[0:1], 0x20
	s_mul_i32 s4, s17, s14
	s_add_co_i32 s19, s17, 1
	s_sub_co_i32 s18, s16, s4
	s_load_b256 s[4:11], s[0:1], 0x0
	s_sub_co_i32 s20, s18, s14
	s_cmp_ge_u32 s18, s14
	s_cselect_b32 s17, s19, s17
	s_cselect_b32 s18, s20, s18
	s_add_co_i32 s19, s17, 1
	s_cmp_ge_u32 s18, s14
	s_cselect_b32 s17, s19, s17
	s_and_b32 s18, s15, 0xffff
	s_mul_i32 s19, s17, s14
	s_mov_b32 s15, 0
	s_sub_co_i32 s20, s16, s19
	s_mov_b32 s16, 0
	s_mul_i32 s20, s20, s18
	s_mov_b32 s19, exec_lo
	v_add_nc_u32_e32 v1, s20, v0
	s_delay_alu instid0(VALU_DEP_1)
	v_cmpx_gt_i32_e64 s13, v1
	s_cbranch_execnz .LBB4_6
; %bb.1:
	s_or_b32 exec_lo, exec_lo, s19
	s_wait_xcnt 0x0
	s_and_saveexec_b32 s0, s21
	s_wait_kmcnt 0x0
	s_xor_b32 s2, exec_lo, s0
	s_cbranch_execnz .LBB4_22
.LBB4_2:
	s_or_b32 exec_lo, exec_lo, s2
	s_mov_b32 s0, 0
	s_and_saveexec_b32 s1, s16
	s_cbranch_execnz .LBB4_44
.LBB4_3:
	s_or_b32 exec_lo, exec_lo, s1
	s_and_saveexec_b32 s1, s15
	s_cbranch_execnz .LBB4_45
.LBB4_4:
	s_or_b32 exec_lo, exec_lo, s1
	s_and_saveexec_b32 s1, s0
	s_cbranch_execnz .LBB4_46
.LBB4_5:
	s_endpgm
.LBB4_6:
	s_mul_i32 s21, s17, s13
	s_load_b64 s[16:17], s[0:1], 0x38
	v_add3_u32 v2, s20, s21, v0
	v_mov_b64_e32 v[4:5], 0
	s_wait_kmcnt 0x0
	s_cmp_lg_u64 s[2:3], 0
	s_mul_i32 s14, s14, s18
	s_cselect_b32 s20, -1, 0
	v_ashrrev_i32_e32 v3, 31, v2
	s_ashr_i32 s15, s14, 31
	s_mul_i32 s21, s21, s12
	s_mov_b32 s22, 0
                                        ; implicit-def: $sgpr1
	s_delay_alu instid0(VALU_DEP_1)
	v_lshl_add_u64 v[6:7], v[2:3], 3, s[10:11]
	v_mov_b64_e32 v[2:3], 0
	s_lshl_b64 s[10:11], s[14:15], 3
                                        ; implicit-def: $sgpr15
	s_branch .LBB4_8
.LBB4_7:                                ;   in Loop: Header=BB4_8 Depth=1
	s_or_b32 exec_lo, exec_lo, s26
	s_xor_b32 s0, s0, -1
	s_xor_b32 s24, s24, -1
	s_and_b32 s23, exec_lo, s23
	s_delay_alu instid0(SALU_CYCLE_1)
	s_or_b32 s22, s23, s22
	s_and_not1_b32 s1, s1, exec_lo
	s_and_b32 s0, s0, exec_lo
	s_and_not1_b32 s15, s15, exec_lo
	s_and_b32 s23, s24, exec_lo
	s_or_b32 s1, s1, s0
	s_or_b32 s15, s15, s23
	s_and_not1_b32 exec_lo, exec_lo, s22
	s_cbranch_execz .LBB4_19
.LBB4_8:                                ; =>This Inner Loop Header: Depth=1
	global_load_b64 v[8:9], v[6:7], off
	s_mov_b32 s25, -1
	s_mov_b32 s23, exec_lo
                                        ; implicit-def: $sgpr24
                                        ; implicit-def: $sgpr0
	s_wait_loadcnt 0x0
	v_ashrrev_i32_e32 v9, 31, v8
	s_wait_xcnt 0x0
	s_delay_alu instid0(VALU_DEP_1)
	v_cmpx_ne_u64_e64 s[16:17], v[8:9]
	s_cbranch_execz .LBB4_17
; %bb.9:                                ;   in Loop: Header=BB4_8 Depth=1
	v_cmp_lt_i32_e32 vcc_lo, -1, v8
	v_cmp_gt_i32_e64 s0, s12, v8
	s_mov_b32 s24, -1
	s_mov_b32 s26, 0
	s_and_b32 s27, vcc_lo, s0
	s_mov_b32 s0, 0
	s_and_saveexec_b32 s25, s27
	s_cbranch_execz .LBB4_16
; %bb.10:                               ;   in Loop: Header=BB4_8 Depth=1
	s_and_not1_b32 vcc_lo, exec_lo, s20
	s_cbranch_vccnz .LBB4_12
; %bb.11:                               ;   in Loop: Header=BB4_8 Depth=1
	v_lshl_add_u64 v[10:11], v[8:9], 3, s[2:3]
	global_load_b64 v[10:11], v[10:11], off
	s_branch .LBB4_13
.LBB4_12:                               ;   in Loop: Header=BB4_8 Depth=1
	v_mov_b64_e32 v[10:11], 1.0
.LBB4_13:                               ;   in Loop: Header=BB4_8 Depth=1
	v_add_nc_u32_e32 v9, s21, v1
	s_mov_b32 s0, exec_lo
	s_delay_alu instid0(VALU_DEP_1) | instskip(SKIP_1) | instid1(VALU_DEP_1)
	v_mad_u32 v8, s13, v8, v9
	s_wait_xcnt 0x0
	v_cmpx_lt_i32_e32 -1, v8
	s_cbranch_execz .LBB4_15
; %bb.14:                               ;   in Loop: Header=BB4_8 Depth=1
	global_load_b64 v[8:9], v8, s[8:9] scale_offset
	s_wait_loadcnt 0x1
	v_add_f64_e32 v[4:5], v[4:5], v[10:11]
	s_mov_b32 s26, exec_lo
	s_wait_loadcnt 0x0
	v_fma_f64 v[2:3], -v[10:11], v[8:9], v[2:3]
.LBB4_15:                               ;   in Loop: Header=BB4_8 Depth=1
	s_or_b32 exec_lo, exec_lo, s0
	s_delay_alu instid0(SALU_CYCLE_1)
	s_mov_b32 s0, exec_lo
	s_xor_b32 s24, exec_lo, -1
	s_and_b32 s26, s26, exec_lo
.LBB4_16:                               ;   in Loop: Header=BB4_8 Depth=1
	s_or_b32 exec_lo, exec_lo, s25
	s_delay_alu instid0(SALU_CYCLE_1)
	s_or_not1_b32 s25, s26, exec_lo
.LBB4_17:                               ;   in Loop: Header=BB4_8 Depth=1
	s_or_b32 exec_lo, exec_lo, s23
	s_mov_b32 s23, -1
	s_and_saveexec_b32 s26, s25
	s_cbranch_execz .LBB4_7
; %bb.18:                               ;   in Loop: Header=BB4_8 Depth=1
	v_add_nc_u32_e32 v1, s14, v1
	v_add_nc_u64_e32 v[6:7], s[10:11], v[6:7]
	s_and_not1_b32 s0, s0, exec_lo
	s_and_not1_b32 s24, s24, exec_lo
	s_delay_alu instid0(VALU_DEP_2)
	v_cmp_le_i32_e32 vcc_lo, s13, v1
	s_or_not1_b32 s23, vcc_lo, exec_lo
	s_branch .LBB4_7
.LBB4_19:
	s_or_b32 exec_lo, exec_lo, s22
	v_mov_b64_e32 v[6:7], 0
	v_mov_b64_e32 v[8:9], 0
	s_mov_b32 s2, 0
	s_mov_b32 s8, -1
	s_mov_b32 s0, 0
	s_and_saveexec_b32 s3, s15
	s_delay_alu instid0(SALU_CYCLE_1)
	s_xor_b32 s3, exec_lo, s3
; %bb.20:
	v_mov_b64_e32 v[6:7], v[2:3]
	v_mov_b64_e32 v[8:9], v[4:5]
	s_mov_b32 s0, exec_lo
	s_xor_b32 s8, exec_lo, -1
	s_and_b32 s2, s1, exec_lo
; %bb.21:
	s_or_b32 exec_lo, exec_lo, s3
	s_delay_alu instid0(SALU_CYCLE_1) | instskip(SKIP_4) | instid1(SALU_CYCLE_1)
	s_and_b32 s15, s8, exec_lo
	s_and_b32 s16, s0, exec_lo
	s_or_not1_b32 s21, s2, exec_lo
	s_or_b32 exec_lo, exec_lo, s19
	s_and_saveexec_b32 s0, s21
	s_xor_b32 s2, exec_lo, s0
	s_cbranch_execz .LBB4_2
.LBB4_22:
	s_wait_loadcnt 0x0
	v_mbcnt_lo_u32_b32 v11, -1, 0
	v_dual_lshrrev_b32 v12, 2, v0 :: v_dual_bitop2_b32 v13, 31, v0 bitop3:0x40
	s_barrier_signal -1
	s_delay_alu instid0(VALU_DEP_2)
	v_lshl_or_b32 v1, v11, 2, 64
	v_cmp_gt_u32_e32 vcc_lo, 24, v11
	s_barrier_wait -1
	ds_bpermute_b32 v2, v1, v8
	ds_bpermute_b32 v3, v1, v9
	v_cndmask_b32_e64 v4, 0, 8, vcc_lo
	v_cmp_gt_u32_e32 vcc_lo, 28, v11
	s_wait_dscnt 0x0
	v_add_f64_e32 v[2:3], v[8:9], v[2:3]
	s_delay_alu instid0(VALU_DEP_3)
	v_add_lshl_u32 v8, v4, v11, 2
	ds_bpermute_b32 v4, v8, v2
	ds_bpermute_b32 v5, v8, v3
	s_wait_dscnt 0x0
	v_add_f64_e32 v[2:3], v[2:3], v[4:5]
	v_cndmask_b32_e64 v4, 0, 4, vcc_lo
	v_cmp_gt_u32_e32 vcc_lo, 30, v11
	s_delay_alu instid0(VALU_DEP_2)
	v_add_lshl_u32 v9, v4, v11, 2
	ds_bpermute_b32 v4, v9, v2
	ds_bpermute_b32 v5, v9, v3
	s_wait_dscnt 0x0
	v_add_f64_e32 v[2:3], v[2:3], v[4:5]
	v_cndmask_b32_e64 v4, 0, 2, vcc_lo
	v_cmp_ne_u32_e32 vcc_lo, 31, v11
	s_delay_alu instid0(VALU_DEP_2)
	v_add_lshl_u32 v10, v4, v11, 2
	ds_bpermute_b32 v4, v10, v2
	ds_bpermute_b32 v5, v10, v3
	s_wait_dscnt 0x0
	v_add_f64_e32 v[2:3], v[2:3], v[4:5]
	v_add_co_ci_u32_e64 v4, null, 0, v11, vcc_lo
	v_cmp_eq_u32_e32 vcc_lo, 0, v13
	s_delay_alu instid0(VALU_DEP_2)
	v_lshlrev_b32_e32 v11, 2, v4
	ds_bpermute_b32 v4, v11, v2
	ds_bpermute_b32 v5, v11, v3
	s_and_saveexec_b32 s0, vcc_lo
	s_cbranch_execz .LBB4_24
; %bb.23:
	s_wait_dscnt 0x0
	v_add_f64_e32 v[2:3], v[2:3], v[4:5]
	ds_store_b64 v12, v[2:3] offset:8192
.LBB4_24:
	s_or_b32 exec_lo, exec_lo, s0
	s_lshr_b32 s0, s18, 5
	v_mov_b64_e32 v[2:3], 0
	v_cmp_gt_u32_e64 s0, s0, v0
	v_lshlrev_b32_e32 v13, 3, v13
	s_wait_dscnt 0x0
	s_barrier_signal -1
	s_barrier_wait -1
	s_and_saveexec_b32 s1, s0
; %bb.25:
	ds_load_b64 v[2:3], v13 offset:8192
; %bb.26:
	s_or_b32 exec_lo, exec_lo, s1
	v_cmp_gt_u32_e64 s1, 32, v0
	s_and_saveexec_b32 s3, s1
	s_cbranch_execz .LBB4_28
; %bb.27:
	s_wait_dscnt 0x0
	ds_bpermute_b32 v4, v1, v2
	ds_bpermute_b32 v5, v1, v3
	s_wait_dscnt 0x0
	v_add_f64_e32 v[2:3], v[2:3], v[4:5]
	ds_bpermute_b32 v4, v8, v2
	ds_bpermute_b32 v5, v8, v3
	s_wait_dscnt 0x0
	v_add_f64_e32 v[2:3], v[2:3], v[4:5]
	;; [unrolled: 4-line block ×5, first 2 shown]
.LBB4_28:
	s_or_b32 exec_lo, exec_lo, s3
	ds_bpermute_b32 v4, v1, v6
	ds_bpermute_b32 v5, v1, v7
	s_wait_dscnt 0x0
	s_barrier_signal -1
	s_barrier_wait -1
	v_add_f64_e32 v[4:5], v[6:7], v[4:5]
	ds_bpermute_b32 v6, v8, v4
	ds_bpermute_b32 v7, v8, v5
	s_wait_dscnt 0x0
	v_add_f64_e32 v[4:5], v[4:5], v[6:7]
	ds_bpermute_b32 v6, v9, v4
	ds_bpermute_b32 v7, v9, v5
	s_wait_dscnt 0x0
	;; [unrolled: 4-line block ×3, first 2 shown]
	v_add_f64_e32 v[4:5], v[4:5], v[6:7]
	ds_bpermute_b32 v6, v11, v4
	ds_bpermute_b32 v7, v11, v5
	s_and_saveexec_b32 s3, vcc_lo
	s_cbranch_execz .LBB4_30
; %bb.29:
	s_wait_dscnt 0x0
	v_add_f64_e32 v[4:5], v[4:5], v[6:7]
	ds_store_b64 v12, v[4:5]
.LBB4_30:
	s_or_b32 exec_lo, exec_lo, s3
	v_mov_b64_e32 v[4:5], 0
	s_wait_dscnt 0x0
	s_barrier_signal -1
	s_barrier_wait -1
	s_and_saveexec_b32 s3, s0
; %bb.31:
	ds_load_b64 v[4:5], v13
; %bb.32:
	s_or_b32 exec_lo, exec_lo, s3
	s_and_saveexec_b32 s0, s1
	s_cbranch_execz .LBB4_34
; %bb.33:
	s_wait_dscnt 0x0
	ds_bpermute_b32 v6, v1, v4
	ds_bpermute_b32 v7, v1, v5
	s_wait_dscnt 0x0
	v_add_f64_e32 v[4:5], v[4:5], v[6:7]
	ds_bpermute_b32 v6, v8, v4
	ds_bpermute_b32 v7, v8, v5
	s_wait_dscnt 0x0
	v_add_f64_e32 v[4:5], v[4:5], v[6:7]
	;; [unrolled: 4-line block ×5, first 2 shown]
.LBB4_34:
	s_or_b32 exec_lo, exec_lo, s0
	s_delay_alu instid0(SALU_CYCLE_1)
	s_mov_b32 s0, exec_lo
	v_cmpx_eq_u32_e32 0, v0
	s_cbranch_execz .LBB4_43
; %bb.35:
	v_mov_b64_e32 v[0:1], 0x8000000000000000
	s_mov_b32 s1, exec_lo
.LBB4_36:                               ; =>This Inner Loop Header: Depth=1
	s_delay_alu instid0(SALU_CYCLE_1) | instskip(NEXT) | instid1(SALU_CYCLE_1)
	s_ctz_i32_b32 s3, s1
	v_readlane_b32 s9, v3, s3
	v_readlane_b32 s8, v2, s3
	s_lshl_b32 s3, 1, s3
	s_delay_alu instid0(SALU_CYCLE_1)
	s_and_not1_b32 s1, s1, s3
	v_add_f64_e32 v[0:1], s[8:9], v[0:1]
	s_cmp_lg_u32 s1, 0
	s_cbranch_scc1 .LBB4_36
; %bb.37:
	v_mbcnt_lo_u32_b32 v2, exec_lo, 0
	s_mov_b32 s1, exec_lo
	s_delay_alu instid0(VALU_DEP_1)
	v_cmpx_eq_u32_e32 0, v2
	s_xor_b32 s1, exec_lo, s1
	s_cbranch_execz .LBB4_39
; %bb.38:
	v_mov_b32_e32 v2, 0
	global_atomic_add_f64 v2, v[0:1], s[6:7] scope:SCOPE_DEV
.LBB4_39:
	s_wait_xcnt 0x0
	s_or_b32 exec_lo, exec_lo, s1
	v_mov_b64_e32 v[0:1], 0x8000000000000000
	s_mov_b32 s1, exec_lo
.LBB4_40:                               ; =>This Inner Loop Header: Depth=1
	s_delay_alu instid0(SALU_CYCLE_1) | instskip(SKIP_4) | instid1(SALU_CYCLE_1)
	s_ctz_i32_b32 s3, s1
	s_wait_dscnt 0x0
	v_readlane_b32 s7, v5, s3
	v_readlane_b32 s6, v4, s3
	s_lshl_b32 s3, 1, s3
	s_and_not1_b32 s1, s1, s3
	v_add_f64_e32 v[0:1], s[6:7], v[0:1]
	s_cmp_lg_u32 s1, 0
	s_cbranch_scc1 .LBB4_40
; %bb.41:
	v_mbcnt_lo_u32_b32 v2, exec_lo, 0
	s_delay_alu instid0(VALU_DEP_1)
	v_cmp_eq_u32_e32 vcc_lo, 0, v2
	s_and_b32 exec_lo, exec_lo, vcc_lo
	s_cbranch_execz .LBB4_43
; %bb.42:
	v_mov_b32_e32 v2, 0
	global_atomic_add_f64 v2, v[0:1], s[4:5] scope:SCOPE_DEV
.LBB4_43:
	s_wait_xcnt 0x0
	s_or_b32 exec_lo, exec_lo, s0
	s_delay_alu instid0(SALU_CYCLE_1)
	s_and_not1_b32 s16, s16, exec_lo
	s_or_b32 exec_lo, exec_lo, s2
	s_mov_b32 s0, 0
	s_and_saveexec_b32 s1, s16
	s_cbranch_execz .LBB4_3
.LBB4_44:
	s_mov_b32 s0, exec_lo
	s_trap 2
	s_or_b32 exec_lo, exec_lo, s1
	s_and_saveexec_b32 s1, s15
	s_cbranch_execz .LBB4_4
.LBB4_45:
	s_or_b32 s0, s0, exec_lo
	s_trap 2
	s_or_b32 exec_lo, exec_lo, s1
	s_and_saveexec_b32 s1, s0
	s_cbranch_execz .LBB4_5
.LBB4_46:
	; divergent unreachable
	s_endpgm
	.section	.rodata,"a",@progbits
	.p2align	6, 0x0
	.amdhsa_kernel _ZN2at6native12_GLOBAL__N_125nll_loss2d_forward_kernelIddiEEvPT_S4_PKS3_PKlS6_iiil
		.amdhsa_group_segment_fixed_size 16384
		.amdhsa_private_segment_fixed_size 0
		.amdhsa_kernarg_size 320
		.amdhsa_user_sgpr_count 2
		.amdhsa_user_sgpr_dispatch_ptr 0
		.amdhsa_user_sgpr_queue_ptr 0
		.amdhsa_user_sgpr_kernarg_segment_ptr 1
		.amdhsa_user_sgpr_dispatch_id 0
		.amdhsa_user_sgpr_kernarg_preload_length 0
		.amdhsa_user_sgpr_kernarg_preload_offset 0
		.amdhsa_user_sgpr_private_segment_size 0
		.amdhsa_wavefront_size32 1
		.amdhsa_uses_dynamic_stack 0
		.amdhsa_enable_private_segment 0
		.amdhsa_system_sgpr_workgroup_id_x 1
		.amdhsa_system_sgpr_workgroup_id_y 0
		.amdhsa_system_sgpr_workgroup_id_z 0
		.amdhsa_system_sgpr_workgroup_info 0
		.amdhsa_system_vgpr_workitem_id 0
		.amdhsa_next_free_vgpr 14
		.amdhsa_next_free_sgpr 28
		.amdhsa_named_barrier_count 0
		.amdhsa_reserve_vcc 1
		.amdhsa_float_round_mode_32 0
		.amdhsa_float_round_mode_16_64 0
		.amdhsa_float_denorm_mode_32 3
		.amdhsa_float_denorm_mode_16_64 3
		.amdhsa_fp16_overflow 0
		.amdhsa_memory_ordered 1
		.amdhsa_forward_progress 1
		.amdhsa_inst_pref_size 15
		.amdhsa_round_robin_scheduling 0
		.amdhsa_exception_fp_ieee_invalid_op 0
		.amdhsa_exception_fp_denorm_src 0
		.amdhsa_exception_fp_ieee_div_zero 0
		.amdhsa_exception_fp_ieee_overflow 0
		.amdhsa_exception_fp_ieee_underflow 0
		.amdhsa_exception_fp_ieee_inexact 0
		.amdhsa_exception_int_div_zero 0
	.end_amdhsa_kernel
	.section	.text._ZN2at6native12_GLOBAL__N_125nll_loss2d_forward_kernelIddiEEvPT_S4_PKS3_PKlS6_iiil,"axG",@progbits,_ZN2at6native12_GLOBAL__N_125nll_loss2d_forward_kernelIddiEEvPT_S4_PKS3_PKlS6_iiil,comdat
.Lfunc_end4:
	.size	_ZN2at6native12_GLOBAL__N_125nll_loss2d_forward_kernelIddiEEvPT_S4_PKS3_PKlS6_iiil, .Lfunc_end4-_ZN2at6native12_GLOBAL__N_125nll_loss2d_forward_kernelIddiEEvPT_S4_PKS3_PKlS6_iiil
                                        ; -- End function
	.set _ZN2at6native12_GLOBAL__N_125nll_loss2d_forward_kernelIddiEEvPT_S4_PKS3_PKlS6_iiil.num_vgpr, 14
	.set _ZN2at6native12_GLOBAL__N_125nll_loss2d_forward_kernelIddiEEvPT_S4_PKS3_PKlS6_iiil.num_agpr, 0
	.set _ZN2at6native12_GLOBAL__N_125nll_loss2d_forward_kernelIddiEEvPT_S4_PKS3_PKlS6_iiil.numbered_sgpr, 28
	.set _ZN2at6native12_GLOBAL__N_125nll_loss2d_forward_kernelIddiEEvPT_S4_PKS3_PKlS6_iiil.num_named_barrier, 0
	.set _ZN2at6native12_GLOBAL__N_125nll_loss2d_forward_kernelIddiEEvPT_S4_PKS3_PKlS6_iiil.private_seg_size, 0
	.set _ZN2at6native12_GLOBAL__N_125nll_loss2d_forward_kernelIddiEEvPT_S4_PKS3_PKlS6_iiil.uses_vcc, 1
	.set _ZN2at6native12_GLOBAL__N_125nll_loss2d_forward_kernelIddiEEvPT_S4_PKS3_PKlS6_iiil.uses_flat_scratch, 0
	.set _ZN2at6native12_GLOBAL__N_125nll_loss2d_forward_kernelIddiEEvPT_S4_PKS3_PKlS6_iiil.has_dyn_sized_stack, 0
	.set _ZN2at6native12_GLOBAL__N_125nll_loss2d_forward_kernelIddiEEvPT_S4_PKS3_PKlS6_iiil.has_recursion, 0
	.set _ZN2at6native12_GLOBAL__N_125nll_loss2d_forward_kernelIddiEEvPT_S4_PKS3_PKlS6_iiil.has_indirect_call, 0
	.section	.AMDGPU.csdata,"",@progbits
; Kernel info:
; codeLenInByte = 1908
; TotalNumSgprs: 30
; NumVgprs: 14
; ScratchSize: 0
; MemoryBound: 0
; FloatMode: 240
; IeeeMode: 1
; LDSByteSize: 16384 bytes/workgroup (compile time only)
; SGPRBlocks: 0
; VGPRBlocks: 0
; NumSGPRsForWavesPerEU: 30
; NumVGPRsForWavesPerEU: 14
; NamedBarCnt: 0
; Occupancy: 16
; WaveLimiterHint : 1
; COMPUTE_PGM_RSRC2:SCRATCH_EN: 0
; COMPUTE_PGM_RSRC2:USER_SGPR: 2
; COMPUTE_PGM_RSRC2:TRAP_HANDLER: 0
; COMPUTE_PGM_RSRC2:TGID_X_EN: 1
; COMPUTE_PGM_RSRC2:TGID_Y_EN: 0
; COMPUTE_PGM_RSRC2:TGID_Z_EN: 0
; COMPUTE_PGM_RSRC2:TIDIG_COMP_CNT: 0
	.section	.text._ZN2at6native12_GLOBAL__N_138nll_loss2d_forward_size_average_kernelIdEEvPT_PKS3_,"axG",@progbits,_ZN2at6native12_GLOBAL__N_138nll_loss2d_forward_size_average_kernelIdEEvPT_PKS3_,comdat
	.globl	_ZN2at6native12_GLOBAL__N_138nll_loss2d_forward_size_average_kernelIdEEvPT_PKS3_ ; -- Begin function _ZN2at6native12_GLOBAL__N_138nll_loss2d_forward_size_average_kernelIdEEvPT_PKS3_
	.p2align	8
	.type	_ZN2at6native12_GLOBAL__N_138nll_loss2d_forward_size_average_kernelIdEEvPT_PKS3_,@function
_ZN2at6native12_GLOBAL__N_138nll_loss2d_forward_size_average_kernelIdEEvPT_PKS3_: ; @_ZN2at6native12_GLOBAL__N_138nll_loss2d_forward_size_average_kernelIdEEvPT_PKS3_
; %bb.0:
	s_load_b128 s[0:3], s[0:1], 0x0
	s_wait_kmcnt 0x0
	s_load_b64 s[4:5], s[2:3], 0x0
	s_load_b64 s[6:7], s[0:1], 0x0
	s_wait_kmcnt 0x0
	v_div_scale_f64 v[0:1], null, s[4:5], s[4:5], s[6:7]
	s_delay_alu instid0(VALU_DEP_1) | instskip(SKIP_1) | instid1(TRANS32_DEP_1)
	v_rcp_f64_e32 v[2:3], v[0:1]
	v_nop
	v_fma_f64 v[4:5], -v[0:1], v[2:3], 1.0
	s_delay_alu instid0(VALU_DEP_1) | instskip(NEXT) | instid1(VALU_DEP_1)
	v_fmac_f64_e32 v[2:3], v[2:3], v[4:5]
	v_fma_f64 v[4:5], -v[0:1], v[2:3], 1.0
	s_delay_alu instid0(VALU_DEP_1) | instskip(SKIP_1) | instid1(VALU_DEP_1)
	v_fmac_f64_e32 v[2:3], v[2:3], v[4:5]
	v_div_scale_f64 v[4:5], vcc_lo, s[6:7], s[4:5], s[6:7]
	v_mul_f64_e32 v[6:7], v[4:5], v[2:3]
	s_delay_alu instid0(VALU_DEP_1) | instskip(NEXT) | instid1(VALU_DEP_1)
	v_fma_f64 v[0:1], -v[0:1], v[6:7], v[4:5]
	v_div_fmas_f64 v[0:1], v[0:1], v[2:3], v[6:7]
	v_mov_b32_e32 v2, 0
	s_delay_alu instid0(VALU_DEP_2)
	v_div_fixup_f64 v[0:1], v[0:1], s[4:5], s[6:7]
	global_store_b64 v2, v[0:1], s[0:1]
	s_endpgm
	.section	.rodata,"a",@progbits
	.p2align	6, 0x0
	.amdhsa_kernel _ZN2at6native12_GLOBAL__N_138nll_loss2d_forward_size_average_kernelIdEEvPT_PKS3_
		.amdhsa_group_segment_fixed_size 0
		.amdhsa_private_segment_fixed_size 0
		.amdhsa_kernarg_size 16
		.amdhsa_user_sgpr_count 2
		.amdhsa_user_sgpr_dispatch_ptr 0
		.amdhsa_user_sgpr_queue_ptr 0
		.amdhsa_user_sgpr_kernarg_segment_ptr 1
		.amdhsa_user_sgpr_dispatch_id 0
		.amdhsa_user_sgpr_kernarg_preload_length 0
		.amdhsa_user_sgpr_kernarg_preload_offset 0
		.amdhsa_user_sgpr_private_segment_size 0
		.amdhsa_wavefront_size32 1
		.amdhsa_uses_dynamic_stack 0
		.amdhsa_enable_private_segment 0
		.amdhsa_system_sgpr_workgroup_id_x 1
		.amdhsa_system_sgpr_workgroup_id_y 0
		.amdhsa_system_sgpr_workgroup_id_z 0
		.amdhsa_system_sgpr_workgroup_info 0
		.amdhsa_system_vgpr_workitem_id 0
		.amdhsa_next_free_vgpr 8
		.amdhsa_next_free_sgpr 8
		.amdhsa_named_barrier_count 0
		.amdhsa_reserve_vcc 1
		.amdhsa_float_round_mode_32 0
		.amdhsa_float_round_mode_16_64 0
		.amdhsa_float_denorm_mode_32 3
		.amdhsa_float_denorm_mode_16_64 3
		.amdhsa_fp16_overflow 0
		.amdhsa_memory_ordered 1
		.amdhsa_forward_progress 1
		.amdhsa_inst_pref_size 2
		.amdhsa_round_robin_scheduling 0
		.amdhsa_exception_fp_ieee_invalid_op 0
		.amdhsa_exception_fp_denorm_src 0
		.amdhsa_exception_fp_ieee_div_zero 0
		.amdhsa_exception_fp_ieee_overflow 0
		.amdhsa_exception_fp_ieee_underflow 0
		.amdhsa_exception_fp_ieee_inexact 0
		.amdhsa_exception_int_div_zero 0
	.end_amdhsa_kernel
	.section	.text._ZN2at6native12_GLOBAL__N_138nll_loss2d_forward_size_average_kernelIdEEvPT_PKS3_,"axG",@progbits,_ZN2at6native12_GLOBAL__N_138nll_loss2d_forward_size_average_kernelIdEEvPT_PKS3_,comdat
.Lfunc_end5:
	.size	_ZN2at6native12_GLOBAL__N_138nll_loss2d_forward_size_average_kernelIdEEvPT_PKS3_, .Lfunc_end5-_ZN2at6native12_GLOBAL__N_138nll_loss2d_forward_size_average_kernelIdEEvPT_PKS3_
                                        ; -- End function
	.set _ZN2at6native12_GLOBAL__N_138nll_loss2d_forward_size_average_kernelIdEEvPT_PKS3_.num_vgpr, 8
	.set _ZN2at6native12_GLOBAL__N_138nll_loss2d_forward_size_average_kernelIdEEvPT_PKS3_.num_agpr, 0
	.set _ZN2at6native12_GLOBAL__N_138nll_loss2d_forward_size_average_kernelIdEEvPT_PKS3_.numbered_sgpr, 8
	.set _ZN2at6native12_GLOBAL__N_138nll_loss2d_forward_size_average_kernelIdEEvPT_PKS3_.num_named_barrier, 0
	.set _ZN2at6native12_GLOBAL__N_138nll_loss2d_forward_size_average_kernelIdEEvPT_PKS3_.private_seg_size, 0
	.set _ZN2at6native12_GLOBAL__N_138nll_loss2d_forward_size_average_kernelIdEEvPT_PKS3_.uses_vcc, 1
	.set _ZN2at6native12_GLOBAL__N_138nll_loss2d_forward_size_average_kernelIdEEvPT_PKS3_.uses_flat_scratch, 0
	.set _ZN2at6native12_GLOBAL__N_138nll_loss2d_forward_size_average_kernelIdEEvPT_PKS3_.has_dyn_sized_stack, 0
	.set _ZN2at6native12_GLOBAL__N_138nll_loss2d_forward_size_average_kernelIdEEvPT_PKS3_.has_recursion, 0
	.set _ZN2at6native12_GLOBAL__N_138nll_loss2d_forward_size_average_kernelIdEEvPT_PKS3_.has_indirect_call, 0
	.section	.AMDGPU.csdata,"",@progbits
; Kernel info:
; codeLenInByte = 148
; TotalNumSgprs: 10
; NumVgprs: 8
; ScratchSize: 0
; MemoryBound: 1
; FloatMode: 240
; IeeeMode: 1
; LDSByteSize: 0 bytes/workgroup (compile time only)
; SGPRBlocks: 0
; VGPRBlocks: 0
; NumSGPRsForWavesPerEU: 10
; NumVGPRsForWavesPerEU: 8
; NamedBarCnt: 0
; Occupancy: 16
; WaveLimiterHint : 1
; COMPUTE_PGM_RSRC2:SCRATCH_EN: 0
; COMPUTE_PGM_RSRC2:USER_SGPR: 2
; COMPUTE_PGM_RSRC2:TRAP_HANDLER: 0
; COMPUTE_PGM_RSRC2:TGID_X_EN: 1
; COMPUTE_PGM_RSRC2:TGID_Y_EN: 0
; COMPUTE_PGM_RSRC2:TGID_Z_EN: 0
; COMPUTE_PGM_RSRC2:TIDIG_COMP_CNT: 0
	.section	.text._ZN2at6native12_GLOBAL__N_125nll_loss2d_forward_kernelIddlEEvPT_S4_PKS3_PKlS6_iiil,"axG",@progbits,_ZN2at6native12_GLOBAL__N_125nll_loss2d_forward_kernelIddlEEvPT_S4_PKS3_PKlS6_iiil,comdat
	.globl	_ZN2at6native12_GLOBAL__N_125nll_loss2d_forward_kernelIddlEEvPT_S4_PKS3_PKlS6_iiil ; -- Begin function _ZN2at6native12_GLOBAL__N_125nll_loss2d_forward_kernelIddlEEvPT_S4_PKS3_PKlS6_iiil
	.p2align	8
	.type	_ZN2at6native12_GLOBAL__N_125nll_loss2d_forward_kernelIddlEEvPT_S4_PKS3_PKlS6_iiil,@function
_ZN2at6native12_GLOBAL__N_125nll_loss2d_forward_kernelIddlEEvPT_S4_PKS3_PKlS6_iiil: ; @_ZN2at6native12_GLOBAL__N_125nll_loss2d_forward_kernelIddlEEvPT_S4_PKS3_PKlS6_iiil
; %bb.0:
	s_clause 0x1
	s_load_b96 s[12:14], s[0:1], 0x28
	s_load_b32 s3, s[0:1], 0x4c
	s_bfe_u32 s5, ttmp6, 0x4000c
	s_and_b32 s4, ttmp6, 15
	s_add_co_i32 s5, s5, 1
	s_getreg_b32 s7, hwreg(HW_REG_IB_STS2, 6, 4)
	s_mul_i32 s5, ttmp9, s5
	s_load_b64 s[16:17], s[0:1], 0x20
	s_add_co_i32 s4, s4, s5
	v_mov_b64_e32 v[8:9], 0
	v_mov_b64_e32 v[10:11], 0
	s_mov_b32 s23, exec_lo
	s_wait_kmcnt 0x0
	s_cvt_f32_u32 s2, s14
	s_sub_co_i32 s6, 0, s14
	s_delay_alu instid0(SALU_CYCLE_2) | instskip(SKIP_1) | instid1(TRANS32_DEP_1)
	v_rcp_iflag_f32_e32 v1, s2
	v_nop
	v_readfirstlane_b32 s2, v1
	s_mul_f32 s2, s2, 0x4f7ffffe
	s_delay_alu instid0(SALU_CYCLE_3) | instskip(NEXT) | instid1(SALU_CYCLE_3)
	s_cvt_u32_f32 s2, s2
	s_mul_i32 s6, s6, s2
	s_delay_alu instid0(SALU_CYCLE_1) | instskip(NEXT) | instid1(SALU_CYCLE_1)
	s_mul_hi_u32 s6, s2, s6
	s_add_co_i32 s2, s2, s6
	s_cmp_eq_u32 s7, 0
	s_cselect_b32 s15, ttmp9, s4
	s_delay_alu instid0(SALU_CYCLE_1) | instskip(NEXT) | instid1(SALU_CYCLE_1)
	s_mul_hi_u32 s2, s15, s2
	s_mul_i32 s4, s2, s14
	s_add_co_i32 s5, s2, 1
	s_sub_co_i32 s4, s15, s4
	s_delay_alu instid0(SALU_CYCLE_1)
	s_sub_co_i32 s6, s4, s14
	s_cmp_ge_u32 s4, s14
	s_cselect_b32 s2, s5, s2
	s_cselect_b32 s4, s6, s4
	s_add_co_i32 s5, s2, 1
	s_cmp_ge_u32 s4, s14
	s_cselect_b32 s2, s5, s2
	s_load_b256 s[4:11], s[0:1], 0x0
	s_mul_i32 s18, s2, s14
	s_and_b32 s22, s3, 0xffff
	s_sub_co_i32 s3, s15, s18
	s_mov_b32 s15, 0
	v_mad_u32 v2, s3, s22, v0
	s_mov_b32 s18, -1
	s_mov_b32 s3, 0
	s_delay_alu instid0(VALU_DEP_1)
	v_cmpx_gt_i32_e64 s13, v2
	s_cbranch_execnz .LBB6_6
; %bb.1:
	s_or_b32 exec_lo, exec_lo, s23
	s_wait_xcnt 0x0
	s_and_saveexec_b32 s0, s18
	s_delay_alu instid0(SALU_CYCLE_1)
	s_xor_b32 s2, exec_lo, s0
	s_cbranch_execnz .LBB6_22
.LBB6_2:
	s_or_b32 exec_lo, exec_lo, s2
	s_mov_b32 s0, 0
	s_and_saveexec_b32 s1, s15
	s_cbranch_execnz .LBB6_44
.LBB6_3:
	s_or_b32 exec_lo, exec_lo, s1
	s_and_saveexec_b32 s1, s3
	s_cbranch_execnz .LBB6_45
.LBB6_4:
	s_or_b32 exec_lo, exec_lo, s1
	s_and_saveexec_b32 s1, s0
	s_cbranch_execnz .LBB6_46
.LBB6_5:
	s_endpgm
.LBB6_6:
	v_ashrrev_i32_e32 v3, 31, v2
	s_ashr_i32 s19, s13, 31
	s_mov_b32 s18, s13
	s_load_b64 s[20:21], s[0:1], 0x38
	s_wait_xcnt 0x0
	s_mul_u64 s[0:1], s[2:3], s[18:19]
	s_ashr_i32 s13, s12, 31
	v_mad_nc_u64_u32 v[8:9], s0, s12, v[2:3]
	s_cmp_lg_u64 s[16:17], 0
	v_mov_b64_e32 v[4:5], 0
	s_cselect_b32 s2, -1, 0
	s_lshl_b64 s[24:25], s[0:1], 3
	s_mul_i32 s1, s1, s12
	s_wait_kmcnt 0x0
	s_add_nc_u64 s[24:25], s[10:11], s[24:25]
	s_mul_i32 s0, s0, s13
	v_mov_b64_e32 v[6:7], 0
	s_mul_i32 s10, s14, s22
	v_lshl_add_u64 v[10:11], v[2:3], 3, s[24:25]
	v_add3_u32 v9, s0, s1, v9
	s_ashr_i32 s11, s10, 31
                                        ; implicit-def: $sgpr24
                                        ; implicit-def: $sgpr1
	s_delay_alu instid0(SALU_CYCLE_1)
	s_lshl_b64 s[14:15], s[10:11], 3
	s_branch .LBB6_8
.LBB6_7:                                ;   in Loop: Header=BB6_8 Depth=1
	s_or_b32 exec_lo, exec_lo, s28
	s_xor_b32 s0, s0, -1
	s_xor_b32 s26, s26, -1
	s_and_b32 s25, exec_lo, s25
	s_delay_alu instid0(SALU_CYCLE_1)
	s_or_b32 s3, s25, s3
	s_and_not1_b32 s1, s1, exec_lo
	s_and_b32 s0, s0, exec_lo
	s_and_not1_b32 s24, s24, exec_lo
	s_and_b32 s25, s26, exec_lo
	s_or_b32 s1, s1, s0
	s_or_b32 s24, s24, s25
	s_and_not1_b32 exec_lo, exec_lo, s3
	s_cbranch_execz .LBB6_19
.LBB6_8:                                ; =>This Inner Loop Header: Depth=1
	global_load_b64 v[12:13], v[10:11], off
	s_mov_b32 s27, -1
	s_mov_b32 s25, exec_lo
                                        ; implicit-def: $sgpr26
                                        ; implicit-def: $sgpr0
	s_wait_loadcnt 0x0
	s_wait_xcnt 0x0
	v_cmpx_ne_u64_e64 s[20:21], v[12:13]
	s_cbranch_execz .LBB6_17
; %bb.9:                                ;   in Loop: Header=BB6_8 Depth=1
	v_cmp_lt_i64_e32 vcc_lo, -1, v[12:13]
	v_cmp_gt_i64_e64 s0, s[12:13], v[12:13]
	s_mov_b32 s26, -1
	s_mov_b32 s28, 0
	s_and_b32 s29, vcc_lo, s0
	s_mov_b32 s0, 0
	s_and_saveexec_b32 s27, s29
	s_cbranch_execz .LBB6_16
; %bb.10:                               ;   in Loop: Header=BB6_8 Depth=1
	s_and_not1_b32 vcc_lo, exec_lo, s2
	s_cbranch_vccnz .LBB6_12
; %bb.11:                               ;   in Loop: Header=BB6_8 Depth=1
	v_lshl_add_u64 v[14:15], v[12:13], 3, s[16:17]
	global_load_b64 v[14:15], v[14:15], off
	s_branch .LBB6_13
.LBB6_12:                               ;   in Loop: Header=BB6_8 Depth=1
	v_mov_b64_e32 v[14:15], 1.0
.LBB6_13:                               ;   in Loop: Header=BB6_8 Depth=1
	v_mad_nc_u64_u32 v[16:17], v12, s18, v[8:9]
	s_mov_b32 s0, exec_lo
	s_delay_alu instid0(VALU_DEP_1) | instskip(NEXT) | instid1(VALU_DEP_1)
	v_mad_u32 v1, v13, s18, v17
	v_mad_u32 v17, v12, s19, v1
	s_wait_xcnt 0x0
	s_delay_alu instid0(VALU_DEP_1)
	v_cmpx_lt_i64_e32 -1, v[16:17]
	s_cbranch_execz .LBB6_15
; %bb.14:                               ;   in Loop: Header=BB6_8 Depth=1
	v_lshl_add_u64 v[12:13], v[16:17], 3, s[8:9]
	s_wait_loadcnt 0x0
	v_add_f64_e32 v[6:7], v[6:7], v[14:15]
	s_mov_b32 s28, exec_lo
	global_load_b64 v[12:13], v[12:13], off
	s_wait_loadcnt 0x0
	v_fma_f64 v[4:5], -v[14:15], v[12:13], v[4:5]
.LBB6_15:                               ;   in Loop: Header=BB6_8 Depth=1
	s_or_b32 exec_lo, exec_lo, s0
	s_delay_alu instid0(SALU_CYCLE_1)
	s_mov_b32 s0, exec_lo
	s_xor_b32 s26, exec_lo, -1
	s_and_b32 s28, s28, exec_lo
.LBB6_16:                               ;   in Loop: Header=BB6_8 Depth=1
	s_or_b32 exec_lo, exec_lo, s27
	s_delay_alu instid0(SALU_CYCLE_1)
	s_or_not1_b32 s27, s28, exec_lo
.LBB6_17:                               ;   in Loop: Header=BB6_8 Depth=1
	s_or_b32 exec_lo, exec_lo, s25
	s_mov_b32 s25, -1
	s_and_saveexec_b32 s28, s27
	s_cbranch_execz .LBB6_7
; %bb.18:                               ;   in Loop: Header=BB6_8 Depth=1
	v_add_nc_u32_e32 v2, s10, v2
	v_add_nc_u64_e32 v[10:11], s[14:15], v[10:11]
	v_add_nc_u64_e32 v[8:9], s[10:11], v[8:9]
	s_and_not1_b32 s0, s0, exec_lo
	s_and_not1_b32 s26, s26, exec_lo
	v_cmp_le_i32_e32 vcc_lo, s18, v2
	s_or_not1_b32 s25, vcc_lo, exec_lo
	s_branch .LBB6_7
.LBB6_19:
	s_or_b32 exec_lo, exec_lo, s3
	v_mov_b64_e32 v[8:9], 0
	v_mov_b64_e32 v[10:11], 0
	s_mov_b32 s2, 0
	s_mov_b32 s8, -1
	s_mov_b32 s0, 0
	s_and_saveexec_b32 s3, s24
	s_delay_alu instid0(SALU_CYCLE_1)
	s_xor_b32 s3, exec_lo, s3
; %bb.20:
	v_mov_b64_e32 v[8:9], v[4:5]
	v_mov_b64_e32 v[10:11], v[6:7]
	s_mov_b32 s0, exec_lo
	s_xor_b32 s8, exec_lo, -1
	s_and_b32 s2, s1, exec_lo
; %bb.21:
	s_or_b32 exec_lo, exec_lo, s3
	s_delay_alu instid0(SALU_CYCLE_1) | instskip(SKIP_4) | instid1(SALU_CYCLE_1)
	s_and_b32 s3, s8, exec_lo
	s_and_b32 s15, s0, exec_lo
	s_or_not1_b32 s18, s2, exec_lo
	s_or_b32 exec_lo, exec_lo, s23
	s_and_saveexec_b32 s0, s18
	s_xor_b32 s2, exec_lo, s0
	s_cbranch_execz .LBB6_2
.LBB6_22:
	v_mbcnt_lo_u32_b32 v6, -1, 0
	s_wait_loadcnt 0x0
	s_barrier_signal -1
	s_barrier_wait -1
	s_delay_alu instid0(VALU_DEP_1)
	v_lshl_or_b32 v1, v6, 2, 64
	v_cmp_gt_u32_e32 vcc_lo, 24, v6
	v_lshrrev_b32_e32 v14, 2, v0
	ds_bpermute_b32 v2, v1, v10
	ds_bpermute_b32 v3, v1, v11
	v_cndmask_b32_e64 v4, 0, 8, vcc_lo
	v_cmp_gt_u32_e32 vcc_lo, 28, v6
	s_wait_dscnt 0x0
	v_add_f64_e32 v[2:3], v[10:11], v[2:3]
	s_delay_alu instid0(VALU_DEP_3)
	v_add_lshl_u32 v10, v4, v6, 2
	ds_bpermute_b32 v4, v10, v2
	ds_bpermute_b32 v5, v10, v3
	s_wait_dscnt 0x0
	v_add_f64_e32 v[2:3], v[2:3], v[4:5]
	v_cndmask_b32_e64 v4, 0, 4, vcc_lo
	v_cmp_gt_u32_e32 vcc_lo, 30, v6
	s_delay_alu instid0(VALU_DEP_2)
	v_add_lshl_u32 v11, v4, v6, 2
	ds_bpermute_b32 v4, v11, v2
	ds_bpermute_b32 v5, v11, v3
	s_wait_dscnt 0x0
	v_add_f64_e32 v[2:3], v[2:3], v[4:5]
	v_cndmask_b32_e64 v4, 0, 2, vcc_lo
	v_cmp_ne_u32_e32 vcc_lo, 31, v6
	s_delay_alu instid0(VALU_DEP_2)
	v_add_lshl_u32 v12, v4, v6, 2
	ds_bpermute_b32 v4, v12, v2
	ds_bpermute_b32 v5, v12, v3
	s_wait_dscnt 0x0
	v_add_f64_e32 v[2:3], v[2:3], v[4:5]
	v_add_co_ci_u32_e64 v4, null, 0, v6, vcc_lo
	v_and_b32_e32 v6, 31, v0
	s_delay_alu instid0(VALU_DEP_2) | instskip(NEXT) | instid1(VALU_DEP_2)
	v_lshlrev_b32_e32 v13, 2, v4
	v_cmp_eq_u32_e32 vcc_lo, 0, v6
	ds_bpermute_b32 v4, v13, v2
	ds_bpermute_b32 v5, v13, v3
	s_and_saveexec_b32 s0, vcc_lo
	s_cbranch_execz .LBB6_24
; %bb.23:
	s_wait_dscnt 0x0
	v_add_f64_e32 v[2:3], v[2:3], v[4:5]
	ds_store_b64 v14, v[2:3] offset:8192
.LBB6_24:
	s_or_b32 exec_lo, exec_lo, s0
	s_lshr_b32 s0, s22, 5
	v_mov_b64_e32 v[2:3], 0
	v_cmp_gt_u32_e64 s0, s0, v0
	v_lshlrev_b32_e32 v15, 3, v6
	s_wait_dscnt 0x0
	s_barrier_signal -1
	s_barrier_wait -1
	s_and_saveexec_b32 s1, s0
; %bb.25:
	ds_load_b64 v[2:3], v15 offset:8192
; %bb.26:
	s_or_b32 exec_lo, exec_lo, s1
	v_cmp_gt_u32_e64 s1, 32, v0
	s_wait_kmcnt 0x0
	s_and_saveexec_b32 s8, s1
	s_cbranch_execz .LBB6_28
; %bb.27:
	s_wait_dscnt 0x0
	ds_bpermute_b32 v4, v1, v2
	ds_bpermute_b32 v5, v1, v3
	s_wait_dscnt 0x0
	v_add_f64_e32 v[2:3], v[2:3], v[4:5]
	ds_bpermute_b32 v4, v10, v2
	ds_bpermute_b32 v5, v10, v3
	s_wait_dscnt 0x0
	v_add_f64_e32 v[2:3], v[2:3], v[4:5]
	;; [unrolled: 4-line block ×5, first 2 shown]
.LBB6_28:
	s_or_b32 exec_lo, exec_lo, s8
	ds_bpermute_b32 v4, v1, v8
	ds_bpermute_b32 v5, v1, v9
	s_wait_dscnt 0x0
	s_barrier_signal -1
	s_barrier_wait -1
	v_add_f64_e32 v[4:5], v[8:9], v[4:5]
	ds_bpermute_b32 v6, v10, v4
	ds_bpermute_b32 v7, v10, v5
	s_wait_dscnt 0x0
	v_add_f64_e32 v[4:5], v[4:5], v[6:7]
	ds_bpermute_b32 v6, v11, v4
	ds_bpermute_b32 v7, v11, v5
	s_wait_dscnt 0x0
	;; [unrolled: 4-line block ×3, first 2 shown]
	v_add_f64_e32 v[4:5], v[4:5], v[6:7]
	ds_bpermute_b32 v6, v13, v4
	ds_bpermute_b32 v7, v13, v5
	s_and_saveexec_b32 s8, vcc_lo
	s_cbranch_execz .LBB6_30
; %bb.29:
	s_wait_dscnt 0x0
	v_add_f64_e32 v[4:5], v[4:5], v[6:7]
	ds_store_b64 v14, v[4:5]
.LBB6_30:
	s_or_b32 exec_lo, exec_lo, s8
	v_mov_b64_e32 v[4:5], 0
	s_wait_dscnt 0x0
	s_barrier_signal -1
	s_barrier_wait -1
	s_and_saveexec_b32 s8, s0
; %bb.31:
	ds_load_b64 v[4:5], v15
; %bb.32:
	s_or_b32 exec_lo, exec_lo, s8
	s_and_saveexec_b32 s0, s1
	s_cbranch_execz .LBB6_34
; %bb.33:
	s_wait_dscnt 0x0
	ds_bpermute_b32 v6, v1, v4
	ds_bpermute_b32 v7, v1, v5
	s_wait_dscnt 0x0
	v_add_f64_e32 v[4:5], v[4:5], v[6:7]
	ds_bpermute_b32 v6, v10, v4
	ds_bpermute_b32 v7, v10, v5
	s_wait_dscnt 0x0
	v_add_f64_e32 v[4:5], v[4:5], v[6:7]
	;; [unrolled: 4-line block ×5, first 2 shown]
.LBB6_34:
	s_or_b32 exec_lo, exec_lo, s0
	s_delay_alu instid0(SALU_CYCLE_1)
	s_mov_b32 s0, exec_lo
	v_cmpx_eq_u32_e32 0, v0
	s_cbranch_execz .LBB6_43
; %bb.35:
	v_mov_b64_e32 v[0:1], 0x8000000000000000
	s_mov_b32 s1, exec_lo
.LBB6_36:                               ; =>This Inner Loop Header: Depth=1
	s_delay_alu instid0(SALU_CYCLE_1) | instskip(NEXT) | instid1(SALU_CYCLE_1)
	s_ctz_i32_b32 s10, s1
	v_readlane_b32 s9, v3, s10
	v_readlane_b32 s8, v2, s10
	s_delay_alu instid0(VALU_DEP_1) | instskip(SKIP_1) | instid1(SALU_CYCLE_1)
	v_add_f64_e32 v[0:1], s[8:9], v[0:1]
	s_lshl_b32 s8, 1, s10
	s_and_not1_b32 s1, s1, s8
	s_delay_alu instid0(SALU_CYCLE_1)
	s_cmp_lg_u32 s1, 0
	s_cbranch_scc1 .LBB6_36
; %bb.37:
	v_mbcnt_lo_u32_b32 v2, exec_lo, 0
	s_mov_b32 s1, exec_lo
	s_delay_alu instid0(VALU_DEP_1)
	v_cmpx_eq_u32_e32 0, v2
	s_xor_b32 s1, exec_lo, s1
	s_cbranch_execz .LBB6_39
; %bb.38:
	v_mov_b32_e32 v2, 0
	global_atomic_add_f64 v2, v[0:1], s[6:7] scope:SCOPE_DEV
.LBB6_39:
	s_wait_xcnt 0x0
	s_or_b32 exec_lo, exec_lo, s1
	v_mov_b64_e32 v[0:1], 0x8000000000000000
	s_mov_b32 s1, exec_lo
.LBB6_40:                               ; =>This Inner Loop Header: Depth=1
	s_delay_alu instid0(SALU_CYCLE_1) | instskip(SKIP_3) | instid1(VALU_DEP_1)
	s_ctz_i32_b32 s8, s1
	s_wait_dscnt 0x0
	v_readlane_b32 s7, v5, s8
	v_readlane_b32 s6, v4, s8
	v_add_f64_e32 v[0:1], s[6:7], v[0:1]
	s_lshl_b32 s6, 1, s8
	s_delay_alu instid0(SALU_CYCLE_1) | instskip(NEXT) | instid1(SALU_CYCLE_1)
	s_and_not1_b32 s1, s1, s6
	s_cmp_lg_u32 s1, 0
	s_cbranch_scc1 .LBB6_40
; %bb.41:
	v_mbcnt_lo_u32_b32 v2, exec_lo, 0
	s_delay_alu instid0(VALU_DEP_1)
	v_cmp_eq_u32_e32 vcc_lo, 0, v2
	s_and_b32 exec_lo, exec_lo, vcc_lo
	s_cbranch_execz .LBB6_43
; %bb.42:
	v_mov_b32_e32 v2, 0
	global_atomic_add_f64 v2, v[0:1], s[4:5] scope:SCOPE_DEV
.LBB6_43:
	s_wait_xcnt 0x0
	s_or_b32 exec_lo, exec_lo, s0
	s_delay_alu instid0(SALU_CYCLE_1)
	s_and_not1_b32 s15, s15, exec_lo
	s_or_b32 exec_lo, exec_lo, s2
	s_mov_b32 s0, 0
	s_and_saveexec_b32 s1, s15
	s_cbranch_execz .LBB6_3
.LBB6_44:
	s_mov_b32 s0, exec_lo
	s_trap 2
	s_or_b32 exec_lo, exec_lo, s1
	s_and_saveexec_b32 s1, s3
	s_cbranch_execz .LBB6_4
.LBB6_45:
	s_or_b32 s0, s0, exec_lo
	s_trap 2
	s_or_b32 exec_lo, exec_lo, s1
	s_and_saveexec_b32 s1, s0
	s_cbranch_execz .LBB6_5
.LBB6_46:
	; divergent unreachable
	s_endpgm
	.section	.rodata,"a",@progbits
	.p2align	6, 0x0
	.amdhsa_kernel _ZN2at6native12_GLOBAL__N_125nll_loss2d_forward_kernelIddlEEvPT_S4_PKS3_PKlS6_iiil
		.amdhsa_group_segment_fixed_size 16384
		.amdhsa_private_segment_fixed_size 0
		.amdhsa_kernarg_size 320
		.amdhsa_user_sgpr_count 2
		.amdhsa_user_sgpr_dispatch_ptr 0
		.amdhsa_user_sgpr_queue_ptr 0
		.amdhsa_user_sgpr_kernarg_segment_ptr 1
		.amdhsa_user_sgpr_dispatch_id 0
		.amdhsa_user_sgpr_kernarg_preload_length 0
		.amdhsa_user_sgpr_kernarg_preload_offset 0
		.amdhsa_user_sgpr_private_segment_size 0
		.amdhsa_wavefront_size32 1
		.amdhsa_uses_dynamic_stack 0
		.amdhsa_enable_private_segment 0
		.amdhsa_system_sgpr_workgroup_id_x 1
		.amdhsa_system_sgpr_workgroup_id_y 0
		.amdhsa_system_sgpr_workgroup_id_z 0
		.amdhsa_system_sgpr_workgroup_info 0
		.amdhsa_system_vgpr_workitem_id 0
		.amdhsa_next_free_vgpr 18
		.amdhsa_next_free_sgpr 30
		.amdhsa_named_barrier_count 0
		.amdhsa_reserve_vcc 1
		.amdhsa_float_round_mode_32 0
		.amdhsa_float_round_mode_16_64 0
		.amdhsa_float_denorm_mode_32 3
		.amdhsa_float_denorm_mode_16_64 3
		.amdhsa_fp16_overflow 0
		.amdhsa_memory_ordered 1
		.amdhsa_forward_progress 1
		.amdhsa_inst_pref_size 16
		.amdhsa_round_robin_scheduling 0
		.amdhsa_exception_fp_ieee_invalid_op 0
		.amdhsa_exception_fp_denorm_src 0
		.amdhsa_exception_fp_ieee_div_zero 0
		.amdhsa_exception_fp_ieee_overflow 0
		.amdhsa_exception_fp_ieee_underflow 0
		.amdhsa_exception_fp_ieee_inexact 0
		.amdhsa_exception_int_div_zero 0
	.end_amdhsa_kernel
	.section	.text._ZN2at6native12_GLOBAL__N_125nll_loss2d_forward_kernelIddlEEvPT_S4_PKS3_PKlS6_iiil,"axG",@progbits,_ZN2at6native12_GLOBAL__N_125nll_loss2d_forward_kernelIddlEEvPT_S4_PKS3_PKlS6_iiil,comdat
.Lfunc_end6:
	.size	_ZN2at6native12_GLOBAL__N_125nll_loss2d_forward_kernelIddlEEvPT_S4_PKS3_PKlS6_iiil, .Lfunc_end6-_ZN2at6native12_GLOBAL__N_125nll_loss2d_forward_kernelIddlEEvPT_S4_PKS3_PKlS6_iiil
                                        ; -- End function
	.set _ZN2at6native12_GLOBAL__N_125nll_loss2d_forward_kernelIddlEEvPT_S4_PKS3_PKlS6_iiil.num_vgpr, 18
	.set _ZN2at6native12_GLOBAL__N_125nll_loss2d_forward_kernelIddlEEvPT_S4_PKS3_PKlS6_iiil.num_agpr, 0
	.set _ZN2at6native12_GLOBAL__N_125nll_loss2d_forward_kernelIddlEEvPT_S4_PKS3_PKlS6_iiil.numbered_sgpr, 30
	.set _ZN2at6native12_GLOBAL__N_125nll_loss2d_forward_kernelIddlEEvPT_S4_PKS3_PKlS6_iiil.num_named_barrier, 0
	.set _ZN2at6native12_GLOBAL__N_125nll_loss2d_forward_kernelIddlEEvPT_S4_PKS3_PKlS6_iiil.private_seg_size, 0
	.set _ZN2at6native12_GLOBAL__N_125nll_loss2d_forward_kernelIddlEEvPT_S4_PKS3_PKlS6_iiil.uses_vcc, 1
	.set _ZN2at6native12_GLOBAL__N_125nll_loss2d_forward_kernelIddlEEvPT_S4_PKS3_PKlS6_iiil.uses_flat_scratch, 0
	.set _ZN2at6native12_GLOBAL__N_125nll_loss2d_forward_kernelIddlEEvPT_S4_PKS3_PKlS6_iiil.has_dyn_sized_stack, 0
	.set _ZN2at6native12_GLOBAL__N_125nll_loss2d_forward_kernelIddlEEvPT_S4_PKS3_PKlS6_iiil.has_recursion, 0
	.set _ZN2at6native12_GLOBAL__N_125nll_loss2d_forward_kernelIddlEEvPT_S4_PKS3_PKlS6_iiil.has_indirect_call, 0
	.section	.AMDGPU.csdata,"",@progbits
; Kernel info:
; codeLenInByte = 1968
; TotalNumSgprs: 32
; NumVgprs: 18
; ScratchSize: 0
; MemoryBound: 0
; FloatMode: 240
; IeeeMode: 1
; LDSByteSize: 16384 bytes/workgroup (compile time only)
; SGPRBlocks: 0
; VGPRBlocks: 1
; NumSGPRsForWavesPerEU: 32
; NumVGPRsForWavesPerEU: 18
; NamedBarCnt: 0
; Occupancy: 16
; WaveLimiterHint : 1
; COMPUTE_PGM_RSRC2:SCRATCH_EN: 0
; COMPUTE_PGM_RSRC2:USER_SGPR: 2
; COMPUTE_PGM_RSRC2:TRAP_HANDLER: 0
; COMPUTE_PGM_RSRC2:TGID_X_EN: 1
; COMPUTE_PGM_RSRC2:TGID_Y_EN: 0
; COMPUTE_PGM_RSRC2:TGID_Z_EN: 0
; COMPUTE_PGM_RSRC2:TIDIG_COMP_CNT: 0
	.section	.text._ZN2at6native12_GLOBAL__N_125nll_loss2d_forward_kernelIffiEEvPT_S4_PKS3_PKlS6_iiil,"axG",@progbits,_ZN2at6native12_GLOBAL__N_125nll_loss2d_forward_kernelIffiEEvPT_S4_PKS3_PKlS6_iiil,comdat
	.globl	_ZN2at6native12_GLOBAL__N_125nll_loss2d_forward_kernelIffiEEvPT_S4_PKS3_PKlS6_iiil ; -- Begin function _ZN2at6native12_GLOBAL__N_125nll_loss2d_forward_kernelIffiEEvPT_S4_PKS3_PKlS6_iiil
	.p2align	8
	.type	_ZN2at6native12_GLOBAL__N_125nll_loss2d_forward_kernelIffiEEvPT_S4_PKS3_PKlS6_iiil,@function
_ZN2at6native12_GLOBAL__N_125nll_loss2d_forward_kernelIffiEEvPT_S4_PKS3_PKlS6_iiil: ; @_ZN2at6native12_GLOBAL__N_125nll_loss2d_forward_kernelIffiEEvPT_S4_PKS3_PKlS6_iiil
; %bb.0:
	s_clause 0x1
	s_load_b96 s[12:14], s[0:1], 0x28
	s_load_b32 s15, s[0:1], 0x4c
	s_bfe_u32 s4, ttmp6, 0x4000c
	s_and_b32 s3, ttmp6, 15
	s_add_co_i32 s4, s4, 1
	s_getreg_b32 s5, hwreg(HW_REG_IB_STS2, 6, 4)
	s_mul_i32 s4, ttmp9, s4
	v_mov_b32_e32 v4, 0
	s_add_co_i32 s3, s3, s4
	s_mov_b32 s21, -1
	v_mov_b32_e32 v2, 0
	s_wait_kmcnt 0x0
	s_cvt_f32_u32 s2, s14
	s_sub_co_i32 s6, 0, s14
	s_delay_alu instid0(SALU_CYCLE_2) | instskip(SKIP_1) | instid1(TRANS32_DEP_1)
	v_rcp_iflag_f32_e32 v1, s2
	v_nop
	v_readfirstlane_b32 s2, v1
	s_mul_f32 s2, s2, 0x4f7ffffe
	s_delay_alu instid0(SALU_CYCLE_3) | instskip(NEXT) | instid1(SALU_CYCLE_3)
	s_cvt_u32_f32 s2, s2
	s_mul_i32 s6, s6, s2
	s_delay_alu instid0(SALU_CYCLE_1) | instskip(NEXT) | instid1(SALU_CYCLE_1)
	s_mul_hi_u32 s6, s2, s6
	s_add_co_i32 s2, s2, s6
	s_cmp_eq_u32 s5, 0
	s_cselect_b32 s16, ttmp9, s3
	s_delay_alu instid0(SALU_CYCLE_1) | instskip(NEXT) | instid1(SALU_CYCLE_1)
	s_mul_hi_u32 s4, s16, s2
	s_mul_i32 s2, s4, s14
	s_add_co_i32 s6, s4, 1
	s_sub_co_i32 s5, s16, s2
	s_load_b64 s[2:3], s[0:1], 0x20
	s_sub_co_i32 s7, s5, s14
	s_cmp_ge_u32 s5, s14
	s_cselect_b32 s17, s6, s4
	s_cselect_b32 s4, s7, s5
	s_add_co_i32 s18, s17, 1
	s_cmp_ge_u32 s4, s14
	s_load_b256 s[4:11], s[0:1], 0x0
	s_cselect_b32 s17, s18, s17
	s_and_b32 s18, s15, 0xffff
	s_mul_i32 s19, s17, s14
	s_mov_b32 s15, 0
	s_sub_co_i32 s20, s16, s19
	s_mov_b32 s16, 0
	s_mul_i32 s20, s20, s18
	s_mov_b32 s19, exec_lo
	v_add_nc_u32_e32 v1, s20, v0
	s_delay_alu instid0(VALU_DEP_1)
	v_cmpx_gt_i32_e64 s13, v1
	s_cbranch_execnz .LBB7_6
; %bb.1:
	s_or_b32 exec_lo, exec_lo, s19
	s_wait_xcnt 0x0
	s_and_saveexec_b32 s0, s21
	s_wait_kmcnt 0x0
	s_xor_b32 s2, exec_lo, s0
	s_cbranch_execnz .LBB7_22
.LBB7_2:
	s_or_b32 exec_lo, exec_lo, s2
	s_mov_b32 s0, 0
	s_and_saveexec_b32 s1, s16
	s_cbranch_execnz .LBB7_44
.LBB7_3:
	s_or_b32 exec_lo, exec_lo, s1
	s_and_saveexec_b32 s1, s15
	s_cbranch_execnz .LBB7_45
.LBB7_4:
	s_or_b32 exec_lo, exec_lo, s1
	s_and_saveexec_b32 s1, s0
	s_cbranch_execnz .LBB7_46
.LBB7_5:
	s_endpgm
.LBB7_6:
	s_mul_i32 s21, s17, s13
	s_load_b64 s[16:17], s[0:1], 0x38
	v_add3_u32 v2, s20, s21, v0
	s_wait_kmcnt 0x0
	s_cmp_lg_u64 s[2:3], 0
	s_mul_i32 s14, s14, s18
	v_mov_b32_e32 v7, 0
	s_cselect_b32 s20, -1, 0
	v_dual_mov_b32 v6, 0 :: v_dual_ashrrev_i32 v3, 31, v2
	s_ashr_i32 s15, s14, 31
	s_mul_i32 s21, s21, s12
	s_mov_b32 s22, 0
	s_delay_alu instid0(VALU_DEP_1)
	v_lshl_add_u64 v[2:3], v[2:3], 3, s[10:11]
	s_lshl_b64 s[10:11], s[14:15], 3
                                        ; implicit-def: $sgpr15
                                        ; implicit-def: $sgpr1
	s_branch .LBB7_8
.LBB7_7:                                ;   in Loop: Header=BB7_8 Depth=1
	s_or_b32 exec_lo, exec_lo, s26
	s_xor_b32 s0, s0, -1
	s_xor_b32 s24, s24, -1
	s_and_b32 s23, exec_lo, s23
	s_delay_alu instid0(SALU_CYCLE_1)
	s_or_b32 s22, s23, s22
	s_and_not1_b32 s1, s1, exec_lo
	s_and_b32 s0, s0, exec_lo
	s_and_not1_b32 s15, s15, exec_lo
	s_and_b32 s23, s24, exec_lo
	s_or_b32 s1, s1, s0
	s_or_b32 s15, s15, s23
	s_and_not1_b32 exec_lo, exec_lo, s22
	s_cbranch_execz .LBB7_19
.LBB7_8:                                ; =>This Inner Loop Header: Depth=1
	s_wait_loadcnt 0x0
	global_load_b64 v[4:5], v[2:3], off
	s_mov_b32 s25, -1
	s_mov_b32 s23, exec_lo
                                        ; implicit-def: $sgpr24
                                        ; implicit-def: $sgpr0
	s_wait_loadcnt 0x0
	v_ashrrev_i32_e32 v5, 31, v4
	s_wait_xcnt 0x0
	s_delay_alu instid0(VALU_DEP_1)
	v_cmpx_ne_u64_e64 s[16:17], v[4:5]
	s_cbranch_execz .LBB7_17
; %bb.9:                                ;   in Loop: Header=BB7_8 Depth=1
	v_cmp_lt_i32_e32 vcc_lo, -1, v4
	v_cmp_gt_i32_e64 s0, s12, v4
	s_mov_b32 s24, -1
	s_mov_b32 s26, 0
	s_and_b32 s27, vcc_lo, s0
	s_mov_b32 s0, 0
	s_and_saveexec_b32 s25, s27
	s_cbranch_execz .LBB7_16
; %bb.10:                               ;   in Loop: Header=BB7_8 Depth=1
	s_and_not1_b32 vcc_lo, exec_lo, s20
	s_cbranch_vccnz .LBB7_12
; %bb.11:                               ;   in Loop: Header=BB7_8 Depth=1
	v_lshl_add_u64 v[8:9], v[4:5], 2, s[2:3]
	global_load_b32 v5, v[8:9], off
	s_branch .LBB7_13
.LBB7_12:                               ;   in Loop: Header=BB7_8 Depth=1
	v_mov_b32_e32 v5, 1.0
.LBB7_13:                               ;   in Loop: Header=BB7_8 Depth=1
	s_wait_xcnt 0x0
	v_add_nc_u32_e32 v8, s21, v1
	s_mov_b32 s0, exec_lo
	s_delay_alu instid0(VALU_DEP_1) | instskip(NEXT) | instid1(VALU_DEP_1)
	v_mad_u32 v4, s13, v4, v8
	v_cmpx_lt_i32_e32 -1, v4
	s_cbranch_execz .LBB7_15
; %bb.14:                               ;   in Loop: Header=BB7_8 Depth=1
	global_load_b32 v4, v4, s[8:9] scale_offset
	s_mov_b32 s26, exec_lo
	s_wait_loadcnt 0x0
	v_dual_add_f32 v7, v7, v5 :: v_dual_fma_f32 v6, -v5, v4, v6
.LBB7_15:                               ;   in Loop: Header=BB7_8 Depth=1
	s_or_b32 exec_lo, exec_lo, s0
	s_delay_alu instid0(SALU_CYCLE_1)
	s_mov_b32 s0, exec_lo
	s_xor_b32 s24, exec_lo, -1
	s_and_b32 s26, s26, exec_lo
.LBB7_16:                               ;   in Loop: Header=BB7_8 Depth=1
	s_or_b32 exec_lo, exec_lo, s25
	s_delay_alu instid0(SALU_CYCLE_1)
	s_or_not1_b32 s25, s26, exec_lo
.LBB7_17:                               ;   in Loop: Header=BB7_8 Depth=1
	s_or_b32 exec_lo, exec_lo, s23
	s_mov_b32 s23, -1
	s_and_saveexec_b32 s26, s25
	s_cbranch_execz .LBB7_7
; %bb.18:                               ;   in Loop: Header=BB7_8 Depth=1
	v_add_nc_u32_e32 v1, s14, v1
	v_add_nc_u64_e32 v[2:3], s[10:11], v[2:3]
	s_and_not1_b32 s0, s0, exec_lo
	s_and_not1_b32 s24, s24, exec_lo
	s_delay_alu instid0(VALU_DEP_2)
	v_cmp_le_i32_e32 vcc_lo, s13, v1
	s_or_not1_b32 s23, vcc_lo, exec_lo
	s_branch .LBB7_7
.LBB7_19:
	s_or_b32 exec_lo, exec_lo, s22
	v_dual_mov_b32 v2, 0 :: v_dual_mov_b32 v4, 0
	s_mov_b32 s2, 0
	s_mov_b32 s8, -1
	s_mov_b32 s0, 0
	s_and_saveexec_b32 s3, s15
	s_delay_alu instid0(SALU_CYCLE_1)
	s_xor_b32 s3, exec_lo, s3
; %bb.20:
	v_dual_mov_b32 v2, v6 :: v_dual_mov_b32 v4, v7
	s_mov_b32 s0, exec_lo
	s_xor_b32 s8, exec_lo, -1
	s_and_b32 s2, s1, exec_lo
; %bb.21:
	s_or_b32 exec_lo, exec_lo, s3
	s_delay_alu instid0(SALU_CYCLE_1) | instskip(SKIP_4) | instid1(SALU_CYCLE_1)
	s_and_b32 s15, s8, exec_lo
	s_and_b32 s16, s0, exec_lo
	s_or_not1_b32 s21, s2, exec_lo
	s_or_b32 exec_lo, exec_lo, s19
	s_and_saveexec_b32 s0, s21
	s_xor_b32 s2, exec_lo, s0
	s_cbranch_execz .LBB7_2
.LBB7_22:
	v_mbcnt_lo_u32_b32 v6, -1, 0
	v_and_b32_e32 v9, 31, v0
	s_wait_loadcnt 0x0
	s_barrier_signal -1
	s_barrier_wait -1
	v_lshl_or_b32 v1, v6, 2, 64
	v_cmp_gt_u32_e32 vcc_lo, 24, v6
	ds_bpermute_b32 v5, v1, v4
	v_cndmask_b32_e64 v3, 0, 8, vcc_lo
	v_cmp_gt_u32_e32 vcc_lo, 28, v6
	s_delay_alu instid0(VALU_DEP_2)
	v_add_lshl_u32 v3, v3, v6, 2
	s_wait_dscnt 0x0
	v_add_f32_e32 v5, v4, v5
	v_cndmask_b32_e64 v4, 0, 4, vcc_lo
	v_cmp_gt_u32_e32 vcc_lo, 30, v6
	ds_bpermute_b32 v7, v3, v5
	v_add_lshl_u32 v4, v4, v6, 2
	s_wait_dscnt 0x0
	v_add_f32_e32 v7, v5, v7
	v_cndmask_b32_e64 v5, 0, 2, vcc_lo
	v_cmp_ne_u32_e32 vcc_lo, 31, v6
	s_delay_alu instid0(VALU_DEP_2) | instskip(SKIP_1) | instid1(VALU_DEP_1)
	v_add_lshl_u32 v5, v5, v6, 2
	v_add_co_ci_u32_e64 v6, null, 0, v6, vcc_lo
	v_lshlrev_b32_e32 v6, 2, v6
	ds_bpermute_b32 v8, v4, v7
	s_wait_dscnt 0x0
	v_add_f32_e32 v7, v7, v8
	ds_bpermute_b32 v8, v5, v7
	s_wait_dscnt 0x0
	v_add_f32_e32 v7, v7, v8
	v_lshrrev_b32_e32 v8, 3, v0
	v_cmp_eq_u32_e32 vcc_lo, 0, v9
	ds_bpermute_b32 v10, v6, v7
	s_and_saveexec_b32 s0, vcc_lo
	s_cbranch_execz .LBB7_24
; %bb.23:
	s_wait_dscnt 0x0
	v_add_f32_e32 v7, v7, v10
	ds_store_b32 v8, v7 offset:4096
.LBB7_24:
	s_or_b32 exec_lo, exec_lo, s0
	s_lshr_b32 s0, s18, 5
	v_dual_mov_b32 v7, 0 :: v_dual_lshlrev_b32 v9, 2, v9
	v_cmp_gt_u32_e64 s0, s0, v0
	s_wait_dscnt 0x0
	s_barrier_signal -1
	s_barrier_wait -1
	s_and_saveexec_b32 s1, s0
; %bb.25:
	ds_load_b32 v7, v9 offset:4096
; %bb.26:
	s_or_b32 exec_lo, exec_lo, s1
	v_cmp_gt_u32_e64 s1, 32, v0
	s_and_saveexec_b32 s3, s1
	s_cbranch_execz .LBB7_28
; %bb.27:
	s_wait_dscnt 0x0
	ds_bpermute_b32 v10, v1, v7
	s_wait_dscnt 0x0
	v_add_f32_e32 v7, v7, v10
	ds_bpermute_b32 v10, v3, v7
	s_wait_dscnt 0x0
	v_add_f32_e32 v7, v7, v10
	;; [unrolled: 3-line block ×5, first 2 shown]
.LBB7_28:
	s_or_b32 exec_lo, exec_lo, s3
	ds_bpermute_b32 v10, v1, v2
	s_wait_dscnt 0x0
	s_barrier_signal -1
	s_barrier_wait -1
	v_add_f32_e32 v2, v2, v10
	ds_bpermute_b32 v10, v3, v2
	s_wait_dscnt 0x0
	v_add_f32_e32 v2, v2, v10
	ds_bpermute_b32 v10, v4, v2
	s_wait_dscnt 0x0
	;; [unrolled: 3-line block ×3, first 2 shown]
	v_add_f32_e32 v2, v2, v10
	ds_bpermute_b32 v10, v6, v2
	s_and_saveexec_b32 s3, vcc_lo
	s_cbranch_execz .LBB7_30
; %bb.29:
	s_wait_dscnt 0x0
	v_add_f32_e32 v2, v2, v10
	ds_store_b32 v8, v2
.LBB7_30:
	s_or_b32 exec_lo, exec_lo, s3
	v_mov_b32_e32 v2, 0
	s_wait_dscnt 0x0
	s_barrier_signal -1
	s_barrier_wait -1
	s_and_saveexec_b32 s3, s0
; %bb.31:
	ds_load_b32 v2, v9
; %bb.32:
	s_or_b32 exec_lo, exec_lo, s3
	s_and_saveexec_b32 s0, s1
	s_cbranch_execz .LBB7_34
; %bb.33:
	s_wait_dscnt 0x0
	ds_bpermute_b32 v1, v1, v2
	s_wait_dscnt 0x0
	v_add_f32_e32 v1, v2, v1
	ds_bpermute_b32 v2, v3, v1
	s_wait_dscnt 0x0
	v_add_f32_e32 v1, v1, v2
	ds_bpermute_b32 v2, v4, v1
	s_wait_dscnt 0x0
	v_add_f32_e32 v1, v1, v2
	ds_bpermute_b32 v2, v5, v1
	s_wait_dscnt 0x0
	v_add_f32_e32 v1, v1, v2
	ds_bpermute_b32 v2, v6, v1
	s_wait_dscnt 0x0
	v_add_f32_e32 v2, v1, v2
.LBB7_34:
	s_or_b32 exec_lo, exec_lo, s0
	s_delay_alu instid0(SALU_CYCLE_1)
	s_mov_b32 s0, exec_lo
	v_cmpx_eq_u32_e32 0, v0
	s_cbranch_execz .LBB7_43
; %bb.35:
	s_mov_b32 s3, exec_lo
	s_brev_b32 s1, 1
.LBB7_36:                               ; =>This Inner Loop Header: Depth=1
	s_ctz_i32_b32 s8, s3
	s_delay_alu instid0(SALU_CYCLE_1) | instskip(SKIP_1) | instid1(SALU_CYCLE_1)
	v_readlane_b32 s9, v7, s8
	s_lshl_b32 s8, 1, s8
	s_and_not1_b32 s3, s3, s8
	s_delay_alu instid0(SALU_CYCLE_1)
	s_cmp_lg_u32 s3, 0
	s_add_f32 s1, s1, s9
	s_cbranch_scc1 .LBB7_36
; %bb.37:
	v_mbcnt_lo_u32_b32 v0, exec_lo, 0
	s_mov_b32 s3, exec_lo
	s_delay_alu instid0(VALU_DEP_1)
	v_cmpx_eq_u32_e32 0, v0
	s_xor_b32 s3, exec_lo, s3
	s_cbranch_execz .LBB7_39
; %bb.38:
	v_dual_mov_b32 v0, 0 :: v_dual_mov_b32 v1, s1
	global_atomic_add_f32 v0, v1, s[6:7] scope:SCOPE_DEV
.LBB7_39:
	s_wait_xcnt 0x0
	s_or_b32 exec_lo, exec_lo, s3
	s_delay_alu instid0(SALU_CYCLE_1)
	s_mov_b32 s3, exec_lo
	s_brev_b32 s1, 1
.LBB7_40:                               ; =>This Inner Loop Header: Depth=1
	s_ctz_i32_b32 s6, s3
	s_wait_dscnt 0x0
	v_readlane_b32 s7, v2, s6
	s_lshl_b32 s6, 1, s6
	s_delay_alu instid0(SALU_CYCLE_1) | instskip(NEXT) | instid1(SALU_CYCLE_1)
	s_and_not1_b32 s3, s3, s6
	s_cmp_lg_u32 s3, 0
	s_add_f32 s1, s1, s7
	s_cbranch_scc1 .LBB7_40
; %bb.41:
	v_mbcnt_lo_u32_b32 v0, exec_lo, 0
	s_delay_alu instid0(VALU_DEP_1)
	v_cmp_eq_u32_e32 vcc_lo, 0, v0
	s_and_b32 exec_lo, exec_lo, vcc_lo
	s_cbranch_execz .LBB7_43
; %bb.42:
	v_dual_mov_b32 v0, 0 :: v_dual_mov_b32 v1, s1
	global_atomic_add_f32 v0, v1, s[4:5] scope:SCOPE_DEV
.LBB7_43:
	s_wait_xcnt 0x0
	s_or_b32 exec_lo, exec_lo, s0
	s_delay_alu instid0(SALU_CYCLE_1)
	s_and_not1_b32 s16, s16, exec_lo
	s_or_b32 exec_lo, exec_lo, s2
	s_mov_b32 s0, 0
	s_and_saveexec_b32 s1, s16
	s_cbranch_execz .LBB7_3
.LBB7_44:
	s_mov_b32 s0, exec_lo
	s_trap 2
	s_or_b32 exec_lo, exec_lo, s1
	s_and_saveexec_b32 s1, s15
	s_cbranch_execz .LBB7_4
.LBB7_45:
	s_or_b32 s0, s0, exec_lo
	s_trap 2
	s_or_b32 exec_lo, exec_lo, s1
	s_and_saveexec_b32 s1, s0
	s_cbranch_execz .LBB7_5
.LBB7_46:
	; divergent unreachable
	s_endpgm
	.section	.rodata,"a",@progbits
	.p2align	6, 0x0
	.amdhsa_kernel _ZN2at6native12_GLOBAL__N_125nll_loss2d_forward_kernelIffiEEvPT_S4_PKS3_PKlS6_iiil
		.amdhsa_group_segment_fixed_size 8192
		.amdhsa_private_segment_fixed_size 0
		.amdhsa_kernarg_size 320
		.amdhsa_user_sgpr_count 2
		.amdhsa_user_sgpr_dispatch_ptr 0
		.amdhsa_user_sgpr_queue_ptr 0
		.amdhsa_user_sgpr_kernarg_segment_ptr 1
		.amdhsa_user_sgpr_dispatch_id 0
		.amdhsa_user_sgpr_kernarg_preload_length 0
		.amdhsa_user_sgpr_kernarg_preload_offset 0
		.amdhsa_user_sgpr_private_segment_size 0
		.amdhsa_wavefront_size32 1
		.amdhsa_uses_dynamic_stack 0
		.amdhsa_enable_private_segment 0
		.amdhsa_system_sgpr_workgroup_id_x 1
		.amdhsa_system_sgpr_workgroup_id_y 0
		.amdhsa_system_sgpr_workgroup_id_z 0
		.amdhsa_system_sgpr_workgroup_info 0
		.amdhsa_system_vgpr_workitem_id 0
		.amdhsa_next_free_vgpr 11
		.amdhsa_next_free_sgpr 28
		.amdhsa_named_barrier_count 0
		.amdhsa_reserve_vcc 1
		.amdhsa_float_round_mode_32 0
		.amdhsa_float_round_mode_16_64 0
		.amdhsa_float_denorm_mode_32 3
		.amdhsa_float_denorm_mode_16_64 3
		.amdhsa_fp16_overflow 0
		.amdhsa_memory_ordered 1
		.amdhsa_forward_progress 1
		.amdhsa_inst_pref_size 14
		.amdhsa_round_robin_scheduling 0
		.amdhsa_exception_fp_ieee_invalid_op 0
		.amdhsa_exception_fp_denorm_src 0
		.amdhsa_exception_fp_ieee_div_zero 0
		.amdhsa_exception_fp_ieee_overflow 0
		.amdhsa_exception_fp_ieee_underflow 0
		.amdhsa_exception_fp_ieee_inexact 0
		.amdhsa_exception_int_div_zero 0
	.end_amdhsa_kernel
	.section	.text._ZN2at6native12_GLOBAL__N_125nll_loss2d_forward_kernelIffiEEvPT_S4_PKS3_PKlS6_iiil,"axG",@progbits,_ZN2at6native12_GLOBAL__N_125nll_loss2d_forward_kernelIffiEEvPT_S4_PKS3_PKlS6_iiil,comdat
.Lfunc_end7:
	.size	_ZN2at6native12_GLOBAL__N_125nll_loss2d_forward_kernelIffiEEvPT_S4_PKS3_PKlS6_iiil, .Lfunc_end7-_ZN2at6native12_GLOBAL__N_125nll_loss2d_forward_kernelIffiEEvPT_S4_PKS3_PKlS6_iiil
                                        ; -- End function
	.set _ZN2at6native12_GLOBAL__N_125nll_loss2d_forward_kernelIffiEEvPT_S4_PKS3_PKlS6_iiil.num_vgpr, 11
	.set _ZN2at6native12_GLOBAL__N_125nll_loss2d_forward_kernelIffiEEvPT_S4_PKS3_PKlS6_iiil.num_agpr, 0
	.set _ZN2at6native12_GLOBAL__N_125nll_loss2d_forward_kernelIffiEEvPT_S4_PKS3_PKlS6_iiil.numbered_sgpr, 28
	.set _ZN2at6native12_GLOBAL__N_125nll_loss2d_forward_kernelIffiEEvPT_S4_PKS3_PKlS6_iiil.num_named_barrier, 0
	.set _ZN2at6native12_GLOBAL__N_125nll_loss2d_forward_kernelIffiEEvPT_S4_PKS3_PKlS6_iiil.private_seg_size, 0
	.set _ZN2at6native12_GLOBAL__N_125nll_loss2d_forward_kernelIffiEEvPT_S4_PKS3_PKlS6_iiil.uses_vcc, 1
	.set _ZN2at6native12_GLOBAL__N_125nll_loss2d_forward_kernelIffiEEvPT_S4_PKS3_PKlS6_iiil.uses_flat_scratch, 0
	.set _ZN2at6native12_GLOBAL__N_125nll_loss2d_forward_kernelIffiEEvPT_S4_PKS3_PKlS6_iiil.has_dyn_sized_stack, 0
	.set _ZN2at6native12_GLOBAL__N_125nll_loss2d_forward_kernelIffiEEvPT_S4_PKS3_PKlS6_iiil.has_recursion, 0
	.set _ZN2at6native12_GLOBAL__N_125nll_loss2d_forward_kernelIffiEEvPT_S4_PKS3_PKlS6_iiil.has_indirect_call, 0
	.section	.AMDGPU.csdata,"",@progbits
; Kernel info:
; codeLenInByte = 1724
; TotalNumSgprs: 30
; NumVgprs: 11
; ScratchSize: 0
; MemoryBound: 0
; FloatMode: 240
; IeeeMode: 1
; LDSByteSize: 8192 bytes/workgroup (compile time only)
; SGPRBlocks: 0
; VGPRBlocks: 0
; NumSGPRsForWavesPerEU: 30
; NumVGPRsForWavesPerEU: 11
; NamedBarCnt: 0
; Occupancy: 16
; WaveLimiterHint : 1
; COMPUTE_PGM_RSRC2:SCRATCH_EN: 0
; COMPUTE_PGM_RSRC2:USER_SGPR: 2
; COMPUTE_PGM_RSRC2:TRAP_HANDLER: 0
; COMPUTE_PGM_RSRC2:TGID_X_EN: 1
; COMPUTE_PGM_RSRC2:TGID_Y_EN: 0
; COMPUTE_PGM_RSRC2:TGID_Z_EN: 0
; COMPUTE_PGM_RSRC2:TIDIG_COMP_CNT: 0
	.section	.text._ZN2at6native12_GLOBAL__N_138nll_loss2d_forward_size_average_kernelIfEEvPT_PKS3_,"axG",@progbits,_ZN2at6native12_GLOBAL__N_138nll_loss2d_forward_size_average_kernelIfEEvPT_PKS3_,comdat
	.globl	_ZN2at6native12_GLOBAL__N_138nll_loss2d_forward_size_average_kernelIfEEvPT_PKS3_ ; -- Begin function _ZN2at6native12_GLOBAL__N_138nll_loss2d_forward_size_average_kernelIfEEvPT_PKS3_
	.p2align	8
	.type	_ZN2at6native12_GLOBAL__N_138nll_loss2d_forward_size_average_kernelIfEEvPT_PKS3_,@function
_ZN2at6native12_GLOBAL__N_138nll_loss2d_forward_size_average_kernelIfEEvPT_PKS3_: ; @_ZN2at6native12_GLOBAL__N_138nll_loss2d_forward_size_average_kernelIfEEvPT_PKS3_
; %bb.0:
	s_load_b128 s[0:3], s[0:1], 0x0
	s_wait_kmcnt 0x0
	s_load_b32 s4, s[2:3], 0x0
	s_load_b32 s5, s[0:1], 0x0
	s_wait_kmcnt 0x0
	v_div_scale_f32 v0, null, s4, s4, s5
	s_delay_alu instid0(VALU_DEP_1)
	v_rcp_f32_e32 v1, v0
	v_nop
	v_xor_b32_e32 v0, 0x80000000, v0
	s_delay_alu instid0(TRANS32_DEP_1) | instid1(VALU_DEP_1)
	v_fma_f32 v2, v0, v1, 1.0
	s_delay_alu instid0(VALU_DEP_1) | instskip(SKIP_1) | instid1(VALU_DEP_1)
	v_fmac_f32_e32 v1, v2, v1
	v_div_scale_f32 v2, vcc_lo, s5, s4, s5
	v_mul_f32_e32 v3, v2, v1
	s_delay_alu instid0(VALU_DEP_1) | instskip(NEXT) | instid1(VALU_DEP_1)
	v_fma_f32 v4, v0, v3, v2
	v_fmac_f32_e32 v3, v4, v1
	s_delay_alu instid0(VALU_DEP_1) | instskip(NEXT) | instid1(VALU_DEP_1)
	v_fmac_f32_e32 v2, v0, v3
	v_div_fmas_f32 v0, v2, v1, v3
	v_mov_b32_e32 v1, 0
	s_delay_alu instid0(VALU_DEP_2)
	v_div_fixup_f32 v0, v0, s4, s5
	global_store_b32 v1, v0, s[0:1]
	s_endpgm
	.section	.rodata,"a",@progbits
	.p2align	6, 0x0
	.amdhsa_kernel _ZN2at6native12_GLOBAL__N_138nll_loss2d_forward_size_average_kernelIfEEvPT_PKS3_
		.amdhsa_group_segment_fixed_size 0
		.amdhsa_private_segment_fixed_size 0
		.amdhsa_kernarg_size 16
		.amdhsa_user_sgpr_count 2
		.amdhsa_user_sgpr_dispatch_ptr 0
		.amdhsa_user_sgpr_queue_ptr 0
		.amdhsa_user_sgpr_kernarg_segment_ptr 1
		.amdhsa_user_sgpr_dispatch_id 0
		.amdhsa_user_sgpr_kernarg_preload_length 0
		.amdhsa_user_sgpr_kernarg_preload_offset 0
		.amdhsa_user_sgpr_private_segment_size 0
		.amdhsa_wavefront_size32 1
		.amdhsa_uses_dynamic_stack 0
		.amdhsa_enable_private_segment 0
		.amdhsa_system_sgpr_workgroup_id_x 1
		.amdhsa_system_sgpr_workgroup_id_y 0
		.amdhsa_system_sgpr_workgroup_id_z 0
		.amdhsa_system_sgpr_workgroup_info 0
		.amdhsa_system_vgpr_workitem_id 0
		.amdhsa_next_free_vgpr 5
		.amdhsa_next_free_sgpr 6
		.amdhsa_named_barrier_count 0
		.amdhsa_reserve_vcc 1
		.amdhsa_float_round_mode_32 0
		.amdhsa_float_round_mode_16_64 0
		.amdhsa_float_denorm_mode_32 3
		.amdhsa_float_denorm_mode_16_64 3
		.amdhsa_fp16_overflow 0
		.amdhsa_memory_ordered 1
		.amdhsa_forward_progress 1
		.amdhsa_inst_pref_size 2
		.amdhsa_round_robin_scheduling 0
		.amdhsa_exception_fp_ieee_invalid_op 0
		.amdhsa_exception_fp_denorm_src 0
		.amdhsa_exception_fp_ieee_div_zero 0
		.amdhsa_exception_fp_ieee_overflow 0
		.amdhsa_exception_fp_ieee_underflow 0
		.amdhsa_exception_fp_ieee_inexact 0
		.amdhsa_exception_int_div_zero 0
	.end_amdhsa_kernel
	.section	.text._ZN2at6native12_GLOBAL__N_138nll_loss2d_forward_size_average_kernelIfEEvPT_PKS3_,"axG",@progbits,_ZN2at6native12_GLOBAL__N_138nll_loss2d_forward_size_average_kernelIfEEvPT_PKS3_,comdat
.Lfunc_end8:
	.size	_ZN2at6native12_GLOBAL__N_138nll_loss2d_forward_size_average_kernelIfEEvPT_PKS3_, .Lfunc_end8-_ZN2at6native12_GLOBAL__N_138nll_loss2d_forward_size_average_kernelIfEEvPT_PKS3_
                                        ; -- End function
	.set _ZN2at6native12_GLOBAL__N_138nll_loss2d_forward_size_average_kernelIfEEvPT_PKS3_.num_vgpr, 5
	.set _ZN2at6native12_GLOBAL__N_138nll_loss2d_forward_size_average_kernelIfEEvPT_PKS3_.num_agpr, 0
	.set _ZN2at6native12_GLOBAL__N_138nll_loss2d_forward_size_average_kernelIfEEvPT_PKS3_.numbered_sgpr, 6
	.set _ZN2at6native12_GLOBAL__N_138nll_loss2d_forward_size_average_kernelIfEEvPT_PKS3_.num_named_barrier, 0
	.set _ZN2at6native12_GLOBAL__N_138nll_loss2d_forward_size_average_kernelIfEEvPT_PKS3_.private_seg_size, 0
	.set _ZN2at6native12_GLOBAL__N_138nll_loss2d_forward_size_average_kernelIfEEvPT_PKS3_.uses_vcc, 1
	.set _ZN2at6native12_GLOBAL__N_138nll_loss2d_forward_size_average_kernelIfEEvPT_PKS3_.uses_flat_scratch, 0
	.set _ZN2at6native12_GLOBAL__N_138nll_loss2d_forward_size_average_kernelIfEEvPT_PKS3_.has_dyn_sized_stack, 0
	.set _ZN2at6native12_GLOBAL__N_138nll_loss2d_forward_size_average_kernelIfEEvPT_PKS3_.has_recursion, 0
	.set _ZN2at6native12_GLOBAL__N_138nll_loss2d_forward_size_average_kernelIfEEvPT_PKS3_.has_indirect_call, 0
	.section	.AMDGPU.csdata,"",@progbits
; Kernel info:
; codeLenInByte = 156
; TotalNumSgprs: 8
; NumVgprs: 5
; ScratchSize: 0
; MemoryBound: 0
; FloatMode: 240
; IeeeMode: 1
; LDSByteSize: 0 bytes/workgroup (compile time only)
; SGPRBlocks: 0
; VGPRBlocks: 0
; NumSGPRsForWavesPerEU: 8
; NumVGPRsForWavesPerEU: 5
; NamedBarCnt: 0
; Occupancy: 16
; WaveLimiterHint : 0
; COMPUTE_PGM_RSRC2:SCRATCH_EN: 0
; COMPUTE_PGM_RSRC2:USER_SGPR: 2
; COMPUTE_PGM_RSRC2:TRAP_HANDLER: 0
; COMPUTE_PGM_RSRC2:TGID_X_EN: 1
; COMPUTE_PGM_RSRC2:TGID_Y_EN: 0
; COMPUTE_PGM_RSRC2:TGID_Z_EN: 0
; COMPUTE_PGM_RSRC2:TIDIG_COMP_CNT: 0
	.section	.text._ZN2at6native12_GLOBAL__N_125nll_loss2d_forward_kernelIfflEEvPT_S4_PKS3_PKlS6_iiil,"axG",@progbits,_ZN2at6native12_GLOBAL__N_125nll_loss2d_forward_kernelIfflEEvPT_S4_PKS3_PKlS6_iiil,comdat
	.globl	_ZN2at6native12_GLOBAL__N_125nll_loss2d_forward_kernelIfflEEvPT_S4_PKS3_PKlS6_iiil ; -- Begin function _ZN2at6native12_GLOBAL__N_125nll_loss2d_forward_kernelIfflEEvPT_S4_PKS3_PKlS6_iiil
	.p2align	8
	.type	_ZN2at6native12_GLOBAL__N_125nll_loss2d_forward_kernelIfflEEvPT_S4_PKS3_PKlS6_iiil,@function
_ZN2at6native12_GLOBAL__N_125nll_loss2d_forward_kernelIfflEEvPT_S4_PKS3_PKlS6_iiil: ; @_ZN2at6native12_GLOBAL__N_125nll_loss2d_forward_kernelIfflEEvPT_S4_PKS3_PKlS6_iiil
; %bb.0:
	s_clause 0x1
	s_load_b96 s[12:14], s[0:1], 0x28
	s_load_b32 s3, s[0:1], 0x4c
	s_bfe_u32 s5, ttmp6, 0x4000c
	s_and_b32 s4, ttmp6, 15
	s_add_co_i32 s5, s5, 1
	s_getreg_b32 s6, hwreg(HW_REG_IB_STS2, 6, 4)
	s_mul_i32 s5, ttmp9, s5
	s_load_b64 s[16:17], s[0:1], 0x20
	s_add_co_i32 s4, s4, s5
	v_dual_mov_b32 v4, 0 :: v_dual_mov_b32 v5, 0
	s_mov_b32 s23, exec_lo
	s_wait_kmcnt 0x0
	s_cvt_f32_u32 s2, s14
	s_sub_co_i32 s7, 0, s14
	s_delay_alu instid0(SALU_CYCLE_2) | instskip(SKIP_1) | instid1(TRANS32_DEP_1)
	v_rcp_iflag_f32_e32 v1, s2
	v_nop
	v_readfirstlane_b32 s2, v1
	s_mul_f32 s2, s2, 0x4f7ffffe
	s_delay_alu instid0(SALU_CYCLE_3) | instskip(NEXT) | instid1(SALU_CYCLE_3)
	s_cvt_u32_f32 s2, s2
	s_mul_i32 s7, s7, s2
	s_delay_alu instid0(SALU_CYCLE_1) | instskip(NEXT) | instid1(SALU_CYCLE_1)
	s_mul_hi_u32 s7, s2, s7
	s_add_co_i32 s2, s2, s7
	s_cmp_eq_u32 s6, 0
	s_cselect_b32 s15, ttmp9, s4
	s_delay_alu instid0(SALU_CYCLE_1) | instskip(NEXT) | instid1(SALU_CYCLE_1)
	s_mul_hi_u32 s2, s15, s2
	s_mul_i32 s4, s2, s14
	s_add_co_i32 s5, s2, 1
	s_sub_co_i32 s4, s15, s4
	s_delay_alu instid0(SALU_CYCLE_1)
	s_sub_co_i32 s6, s4, s14
	s_cmp_ge_u32 s4, s14
	s_cselect_b32 s2, s5, s2
	s_cselect_b32 s4, s6, s4
	s_add_co_i32 s5, s2, 1
	s_cmp_ge_u32 s4, s14
	s_cselect_b32 s2, s5, s2
	s_load_b256 s[4:11], s[0:1], 0x0
	s_mul_i32 s18, s2, s14
	s_and_b32 s22, s3, 0xffff
	s_sub_co_i32 s3, s15, s18
	s_mov_b32 s15, 0
	v_mad_u32 v2, s3, s22, v0
	s_mov_b32 s18, -1
	s_mov_b32 s3, 0
	s_delay_alu instid0(VALU_DEP_1)
	v_cmpx_gt_i32_e64 s13, v2
	s_cbranch_execnz .LBB9_6
; %bb.1:
	s_or_b32 exec_lo, exec_lo, s23
	s_wait_xcnt 0x0
	s_and_saveexec_b32 s0, s18
	s_delay_alu instid0(SALU_CYCLE_1)
	s_xor_b32 s2, exec_lo, s0
	s_cbranch_execnz .LBB9_22
.LBB9_2:
	s_or_b32 exec_lo, exec_lo, s2
	s_mov_b32 s0, 0
	s_and_saveexec_b32 s1, s15
	s_cbranch_execnz .LBB9_44
.LBB9_3:
	s_or_b32 exec_lo, exec_lo, s1
	s_and_saveexec_b32 s1, s3
	s_cbranch_execnz .LBB9_45
.LBB9_4:
	s_or_b32 exec_lo, exec_lo, s1
	s_and_saveexec_b32 s1, s0
	s_cbranch_execnz .LBB9_46
.LBB9_5:
	s_endpgm
.LBB9_6:
	v_dual_ashrrev_i32 v3, 31, v2 :: v_dual_mov_b32 v1, 0
	s_ashr_i32 s19, s13, 31
	s_mov_b32 s18, s13
	s_load_b64 s[20:21], s[0:1], 0x38
	s_mul_u64 s[24:25], s[2:3], s[18:19]
	s_ashr_i32 s13, s12, 31
	v_mad_nc_u64_u32 v[4:5], s24, s12, v[2:3]
	s_cmp_lg_u64 s[16:17], 0
	s_mul_i32 s15, s25, s12
	s_cselect_b32 s2, -1, 0
	s_wait_xcnt 0x0
	s_lshl_b64 s[0:1], s[24:25], 3
	s_mul_i32 s14, s14, s22
	s_wait_kmcnt 0x0
	s_add_nc_u64 s[0:1], s[10:11], s[0:1]
	s_mul_i32 s10, s24, s13
	v_lshl_add_u64 v[6:7], v[2:3], 3, s[0:1]
	v_mov_b32_e32 v3, 0
                                        ; implicit-def: $sgpr24
                                        ; implicit-def: $sgpr1
	v_add3_u32 v5, s10, s15, v5
	s_ashr_i32 s15, s14, 31
	s_delay_alu instid0(SALU_CYCLE_1)
	s_lshl_b64 s[10:11], s[14:15], 3
	s_branch .LBB9_8
.LBB9_7:                                ;   in Loop: Header=BB9_8 Depth=1
	s_or_b32 exec_lo, exec_lo, s28
	s_xor_b32 s0, s0, -1
	s_xor_b32 s26, s26, -1
	s_and_b32 s25, exec_lo, s25
	s_delay_alu instid0(SALU_CYCLE_1)
	s_or_b32 s3, s25, s3
	s_and_not1_b32 s1, s1, exec_lo
	s_and_b32 s0, s0, exec_lo
	s_and_not1_b32 s24, s24, exec_lo
	s_and_b32 s25, s26, exec_lo
	s_or_b32 s1, s1, s0
	s_or_b32 s24, s24, s25
	s_and_not1_b32 exec_lo, exec_lo, s3
	s_cbranch_execz .LBB9_19
.LBB9_8:                                ; =>This Inner Loop Header: Depth=1
	global_load_b64 v[8:9], v[6:7], off
	s_mov_b32 s27, -1
	s_mov_b32 s25, exec_lo
                                        ; implicit-def: $sgpr26
                                        ; implicit-def: $sgpr0
	s_wait_loadcnt 0x0
	s_wait_xcnt 0x0
	v_cmpx_ne_u64_e64 s[20:21], v[8:9]
	s_cbranch_execz .LBB9_17
; %bb.9:                                ;   in Loop: Header=BB9_8 Depth=1
	v_cmp_lt_i64_e32 vcc_lo, -1, v[8:9]
	v_cmp_gt_i64_e64 s0, s[12:13], v[8:9]
	s_mov_b32 s26, -1
	s_mov_b32 s28, 0
	s_and_b32 s29, vcc_lo, s0
	s_mov_b32 s0, 0
	s_and_saveexec_b32 s27, s29
	s_cbranch_execz .LBB9_16
; %bb.10:                               ;   in Loop: Header=BB9_8 Depth=1
	s_and_not1_b32 vcc_lo, exec_lo, s2
	s_cbranch_vccnz .LBB9_12
; %bb.11:                               ;   in Loop: Header=BB9_8 Depth=1
	v_lshl_add_u64 v[10:11], v[8:9], 2, s[16:17]
	global_load_b32 v12, v[10:11], off
	s_branch .LBB9_13
.LBB9_12:                               ;   in Loop: Header=BB9_8 Depth=1
	v_mov_b32_e32 v12, 1.0
.LBB9_13:                               ;   in Loop: Header=BB9_8 Depth=1
	s_wait_xcnt 0x0
	v_mad_nc_u64_u32 v[10:11], v8, s18, v[4:5]
	s_mov_b32 s0, exec_lo
	s_delay_alu instid0(VALU_DEP_1) | instskip(NEXT) | instid1(VALU_DEP_1)
	v_mad_u32 v9, v9, s18, v11
	v_mad_u32 v11, v8, s19, v9
	s_delay_alu instid0(VALU_DEP_1)
	v_cmpx_lt_i64_e32 -1, v[10:11]
	s_cbranch_execz .LBB9_15
; %bb.14:                               ;   in Loop: Header=BB9_8 Depth=1
	v_lshl_add_u64 v[8:9], v[10:11], 2, s[8:9]
	s_wait_loadcnt 0x0
	v_add_f32_e32 v3, v3, v12
	s_mov_b32 s28, exec_lo
	global_load_b32 v8, v[8:9], off
	s_wait_loadcnt 0x0
	v_fma_f32 v1, -v12, v8, v1
.LBB9_15:                               ;   in Loop: Header=BB9_8 Depth=1
	s_or_b32 exec_lo, exec_lo, s0
	s_delay_alu instid0(SALU_CYCLE_1)
	s_mov_b32 s0, exec_lo
	s_xor_b32 s26, exec_lo, -1
	s_and_b32 s28, s28, exec_lo
.LBB9_16:                               ;   in Loop: Header=BB9_8 Depth=1
	s_or_b32 exec_lo, exec_lo, s27
	s_delay_alu instid0(SALU_CYCLE_1)
	s_or_not1_b32 s27, s28, exec_lo
.LBB9_17:                               ;   in Loop: Header=BB9_8 Depth=1
	s_or_b32 exec_lo, exec_lo, s25
	s_mov_b32 s25, -1
	s_and_saveexec_b32 s28, s27
	s_cbranch_execz .LBB9_7
; %bb.18:                               ;   in Loop: Header=BB9_8 Depth=1
	v_add_nc_u32_e32 v2, s14, v2
	v_add_nc_u64_e32 v[6:7], s[10:11], v[6:7]
	v_add_nc_u64_e32 v[4:5], s[14:15], v[4:5]
	s_and_not1_b32 s0, s0, exec_lo
	s_and_not1_b32 s26, s26, exec_lo
	v_cmp_le_i32_e32 vcc_lo, s18, v2
	s_or_not1_b32 s25, vcc_lo, exec_lo
	s_branch .LBB9_7
.LBB9_19:
	s_or_b32 exec_lo, exec_lo, s3
	v_dual_mov_b32 v4, 0 :: v_dual_mov_b32 v5, 0
	s_mov_b32 s2, 0
	s_mov_b32 s8, -1
	s_mov_b32 s0, 0
	s_and_saveexec_b32 s3, s24
	s_delay_alu instid0(SALU_CYCLE_1)
	s_xor_b32 s3, exec_lo, s3
; %bb.20:
	v_dual_mov_b32 v4, v1 :: v_dual_mov_b32 v5, v3
	s_mov_b32 s0, exec_lo
	s_xor_b32 s8, exec_lo, -1
	s_and_b32 s2, s1, exec_lo
; %bb.21:
	s_or_b32 exec_lo, exec_lo, s3
	s_delay_alu instid0(SALU_CYCLE_1) | instskip(SKIP_4) | instid1(SALU_CYCLE_1)
	s_and_b32 s3, s8, exec_lo
	s_and_b32 s15, s0, exec_lo
	s_or_not1_b32 s18, s2, exec_lo
	s_or_b32 exec_lo, exec_lo, s23
	s_and_saveexec_b32 s0, s18
	s_xor_b32 s2, exec_lo, s0
	s_cbranch_execz .LBB9_2
.LBB9_22:
	v_mbcnt_lo_u32_b32 v6, -1, 0
	v_and_b32_e32 v9, 31, v0
	s_wait_loadcnt 0x0
	s_barrier_signal -1
	s_barrier_wait -1
	v_lshl_or_b32 v1, v6, 2, 64
	v_cmp_gt_u32_e32 vcc_lo, 24, v6
	ds_bpermute_b32 v3, v1, v5
	v_cndmask_b32_e64 v2, 0, 8, vcc_lo
	v_cmp_gt_u32_e32 vcc_lo, 28, v6
	s_delay_alu instid0(VALU_DEP_2)
	v_add_lshl_u32 v2, v2, v6, 2
	s_wait_dscnt 0x0
	v_add_f32_e32 v5, v5, v3
	v_cndmask_b32_e64 v3, 0, 4, vcc_lo
	v_cmp_gt_u32_e32 vcc_lo, 30, v6
	ds_bpermute_b32 v7, v2, v5
	v_add_lshl_u32 v3, v3, v6, 2
	s_wait_dscnt 0x0
	v_add_f32_e32 v7, v5, v7
	v_cndmask_b32_e64 v5, 0, 2, vcc_lo
	v_cmp_ne_u32_e32 vcc_lo, 31, v6
	s_delay_alu instid0(VALU_DEP_2) | instskip(SKIP_1) | instid1(VALU_DEP_1)
	v_add_lshl_u32 v5, v5, v6, 2
	v_add_co_ci_u32_e64 v6, null, 0, v6, vcc_lo
	v_lshlrev_b32_e32 v6, 2, v6
	ds_bpermute_b32 v8, v3, v7
	s_wait_dscnt 0x0
	v_add_f32_e32 v7, v7, v8
	ds_bpermute_b32 v8, v5, v7
	s_wait_dscnt 0x0
	v_add_f32_e32 v7, v7, v8
	v_lshrrev_b32_e32 v8, 3, v0
	v_cmp_eq_u32_e32 vcc_lo, 0, v9
	ds_bpermute_b32 v10, v6, v7
	s_and_saveexec_b32 s0, vcc_lo
	s_cbranch_execz .LBB9_24
; %bb.23:
	s_wait_dscnt 0x0
	v_add_f32_e32 v7, v7, v10
	ds_store_b32 v8, v7 offset:4096
.LBB9_24:
	s_or_b32 exec_lo, exec_lo, s0
	s_lshr_b32 s0, s22, 5
	v_dual_mov_b32 v7, 0 :: v_dual_lshlrev_b32 v9, 2, v9
	v_cmp_gt_u32_e64 s0, s0, v0
	s_wait_dscnt 0x0
	s_barrier_signal -1
	s_barrier_wait -1
	s_and_saveexec_b32 s1, s0
; %bb.25:
	ds_load_b32 v7, v9 offset:4096
; %bb.26:
	s_or_b32 exec_lo, exec_lo, s1
	v_cmp_gt_u32_e64 s1, 32, v0
	s_wait_kmcnt 0x0
	s_and_saveexec_b32 s8, s1
	s_cbranch_execz .LBB9_28
; %bb.27:
	s_wait_dscnt 0x0
	ds_bpermute_b32 v10, v1, v7
	s_wait_dscnt 0x0
	v_add_f32_e32 v7, v7, v10
	ds_bpermute_b32 v10, v2, v7
	s_wait_dscnt 0x0
	v_add_f32_e32 v7, v7, v10
	;; [unrolled: 3-line block ×5, first 2 shown]
.LBB9_28:
	s_or_b32 exec_lo, exec_lo, s8
	ds_bpermute_b32 v10, v1, v4
	s_wait_dscnt 0x0
	s_barrier_signal -1
	s_barrier_wait -1
	v_add_f32_e32 v4, v4, v10
	ds_bpermute_b32 v10, v2, v4
	s_wait_dscnt 0x0
	v_add_f32_e32 v4, v4, v10
	ds_bpermute_b32 v10, v3, v4
	s_wait_dscnt 0x0
	;; [unrolled: 3-line block ×3, first 2 shown]
	v_add_f32_e32 v4, v4, v10
	ds_bpermute_b32 v10, v6, v4
	s_and_saveexec_b32 s8, vcc_lo
	s_cbranch_execz .LBB9_30
; %bb.29:
	s_wait_dscnt 0x0
	v_add_f32_e32 v4, v4, v10
	ds_store_b32 v8, v4
.LBB9_30:
	s_or_b32 exec_lo, exec_lo, s8
	v_mov_b32_e32 v4, 0
	s_wait_dscnt 0x0
	s_barrier_signal -1
	s_barrier_wait -1
	s_and_saveexec_b32 s8, s0
; %bb.31:
	ds_load_b32 v4, v9
; %bb.32:
	s_or_b32 exec_lo, exec_lo, s8
	s_and_saveexec_b32 s0, s1
	s_cbranch_execz .LBB9_34
; %bb.33:
	s_wait_dscnt 0x0
	ds_bpermute_b32 v1, v1, v4
	s_wait_dscnt 0x0
	v_add_f32_e32 v1, v4, v1
	ds_bpermute_b32 v2, v2, v1
	s_wait_dscnt 0x0
	v_add_f32_e32 v1, v1, v2
	;; [unrolled: 3-line block ×5, first 2 shown]
.LBB9_34:
	s_or_b32 exec_lo, exec_lo, s0
	s_delay_alu instid0(SALU_CYCLE_1)
	s_mov_b32 s0, exec_lo
	v_cmpx_eq_u32_e32 0, v0
	s_cbranch_execz .LBB9_43
; %bb.35:
	s_mov_b32 s8, exec_lo
	s_brev_b32 s1, 1
.LBB9_36:                               ; =>This Inner Loop Header: Depth=1
	s_ctz_i32_b32 s9, s8
	s_delay_alu instid0(SALU_CYCLE_1) | instskip(SKIP_1) | instid1(SALU_CYCLE_1)
	v_readlane_b32 s10, v7, s9
	s_lshl_b32 s9, 1, s9
	s_and_not1_b32 s8, s8, s9
	s_delay_alu instid0(SALU_CYCLE_1)
	s_cmp_lg_u32 s8, 0
	s_add_f32 s1, s1, s10
	s_cbranch_scc1 .LBB9_36
; %bb.37:
	v_mbcnt_lo_u32_b32 v0, exec_lo, 0
	s_mov_b32 s8, exec_lo
	s_delay_alu instid0(VALU_DEP_1)
	v_cmpx_eq_u32_e32 0, v0
	s_xor_b32 s8, exec_lo, s8
	s_cbranch_execz .LBB9_39
; %bb.38:
	v_dual_mov_b32 v0, 0 :: v_dual_mov_b32 v1, s1
	global_atomic_add_f32 v0, v1, s[6:7] scope:SCOPE_DEV
.LBB9_39:
	s_wait_xcnt 0x0
	s_or_b32 exec_lo, exec_lo, s8
	s_delay_alu instid0(SALU_CYCLE_1)
	s_mov_b32 s6, exec_lo
	s_brev_b32 s1, 1
.LBB9_40:                               ; =>This Inner Loop Header: Depth=1
	s_ctz_i32_b32 s7, s6
	s_wait_dscnt 0x0
	v_readlane_b32 s8, v4, s7
	s_lshl_b32 s7, 1, s7
	s_delay_alu instid0(SALU_CYCLE_1) | instskip(NEXT) | instid1(SALU_CYCLE_1)
	s_and_not1_b32 s6, s6, s7
	s_cmp_lg_u32 s6, 0
	s_add_f32 s1, s1, s8
	s_cbranch_scc1 .LBB9_40
; %bb.41:
	v_mbcnt_lo_u32_b32 v0, exec_lo, 0
	s_delay_alu instid0(VALU_DEP_1)
	v_cmp_eq_u32_e32 vcc_lo, 0, v0
	s_and_b32 exec_lo, exec_lo, vcc_lo
	s_cbranch_execz .LBB9_43
; %bb.42:
	v_dual_mov_b32 v0, 0 :: v_dual_mov_b32 v1, s1
	global_atomic_add_f32 v0, v1, s[4:5] scope:SCOPE_DEV
.LBB9_43:
	s_wait_xcnt 0x0
	s_or_b32 exec_lo, exec_lo, s0
	s_delay_alu instid0(SALU_CYCLE_1)
	s_and_not1_b32 s15, s15, exec_lo
	s_or_b32 exec_lo, exec_lo, s2
	s_mov_b32 s0, 0
	s_and_saveexec_b32 s1, s15
	s_cbranch_execz .LBB9_3
.LBB9_44:
	s_mov_b32 s0, exec_lo
	s_trap 2
	s_or_b32 exec_lo, exec_lo, s1
	s_and_saveexec_b32 s1, s3
	s_cbranch_execz .LBB9_4
.LBB9_45:
	s_or_b32 s0, s0, exec_lo
	s_trap 2
	s_or_b32 exec_lo, exec_lo, s1
	s_and_saveexec_b32 s1, s0
	s_cbranch_execz .LBB9_5
.LBB9_46:
	; divergent unreachable
	s_endpgm
	.section	.rodata,"a",@progbits
	.p2align	6, 0x0
	.amdhsa_kernel _ZN2at6native12_GLOBAL__N_125nll_loss2d_forward_kernelIfflEEvPT_S4_PKS3_PKlS6_iiil
		.amdhsa_group_segment_fixed_size 8192
		.amdhsa_private_segment_fixed_size 0
		.amdhsa_kernarg_size 320
		.amdhsa_user_sgpr_count 2
		.amdhsa_user_sgpr_dispatch_ptr 0
		.amdhsa_user_sgpr_queue_ptr 0
		.amdhsa_user_sgpr_kernarg_segment_ptr 1
		.amdhsa_user_sgpr_dispatch_id 0
		.amdhsa_user_sgpr_kernarg_preload_length 0
		.amdhsa_user_sgpr_kernarg_preload_offset 0
		.amdhsa_user_sgpr_private_segment_size 0
		.amdhsa_wavefront_size32 1
		.amdhsa_uses_dynamic_stack 0
		.amdhsa_enable_private_segment 0
		.amdhsa_system_sgpr_workgroup_id_x 1
		.amdhsa_system_sgpr_workgroup_id_y 0
		.amdhsa_system_sgpr_workgroup_id_z 0
		.amdhsa_system_sgpr_workgroup_info 0
		.amdhsa_system_vgpr_workitem_id 0
		.amdhsa_next_free_vgpr 13
		.amdhsa_next_free_sgpr 30
		.amdhsa_named_barrier_count 0
		.amdhsa_reserve_vcc 1
		.amdhsa_float_round_mode_32 0
		.amdhsa_float_round_mode_16_64 0
		.amdhsa_float_denorm_mode_32 3
		.amdhsa_float_denorm_mode_16_64 3
		.amdhsa_fp16_overflow 0
		.amdhsa_memory_ordered 1
		.amdhsa_forward_progress 1
		.amdhsa_inst_pref_size 14
		.amdhsa_round_robin_scheduling 0
		.amdhsa_exception_fp_ieee_invalid_op 0
		.amdhsa_exception_fp_denorm_src 0
		.amdhsa_exception_fp_ieee_div_zero 0
		.amdhsa_exception_fp_ieee_overflow 0
		.amdhsa_exception_fp_ieee_underflow 0
		.amdhsa_exception_fp_ieee_inexact 0
		.amdhsa_exception_int_div_zero 0
	.end_amdhsa_kernel
	.section	.text._ZN2at6native12_GLOBAL__N_125nll_loss2d_forward_kernelIfflEEvPT_S4_PKS3_PKlS6_iiil,"axG",@progbits,_ZN2at6native12_GLOBAL__N_125nll_loss2d_forward_kernelIfflEEvPT_S4_PKS3_PKlS6_iiil,comdat
.Lfunc_end9:
	.size	_ZN2at6native12_GLOBAL__N_125nll_loss2d_forward_kernelIfflEEvPT_S4_PKS3_PKlS6_iiil, .Lfunc_end9-_ZN2at6native12_GLOBAL__N_125nll_loss2d_forward_kernelIfflEEvPT_S4_PKS3_PKlS6_iiil
                                        ; -- End function
	.set _ZN2at6native12_GLOBAL__N_125nll_loss2d_forward_kernelIfflEEvPT_S4_PKS3_PKlS6_iiil.num_vgpr, 13
	.set _ZN2at6native12_GLOBAL__N_125nll_loss2d_forward_kernelIfflEEvPT_S4_PKS3_PKlS6_iiil.num_agpr, 0
	.set _ZN2at6native12_GLOBAL__N_125nll_loss2d_forward_kernelIfflEEvPT_S4_PKS3_PKlS6_iiil.numbered_sgpr, 30
	.set _ZN2at6native12_GLOBAL__N_125nll_loss2d_forward_kernelIfflEEvPT_S4_PKS3_PKlS6_iiil.num_named_barrier, 0
	.set _ZN2at6native12_GLOBAL__N_125nll_loss2d_forward_kernelIfflEEvPT_S4_PKS3_PKlS6_iiil.private_seg_size, 0
	.set _ZN2at6native12_GLOBAL__N_125nll_loss2d_forward_kernelIfflEEvPT_S4_PKS3_PKlS6_iiil.uses_vcc, 1
	.set _ZN2at6native12_GLOBAL__N_125nll_loss2d_forward_kernelIfflEEvPT_S4_PKS3_PKlS6_iiil.uses_flat_scratch, 0
	.set _ZN2at6native12_GLOBAL__N_125nll_loss2d_forward_kernelIfflEEvPT_S4_PKS3_PKlS6_iiil.has_dyn_sized_stack, 0
	.set _ZN2at6native12_GLOBAL__N_125nll_loss2d_forward_kernelIfflEEvPT_S4_PKS3_PKlS6_iiil.has_recursion, 0
	.set _ZN2at6native12_GLOBAL__N_125nll_loss2d_forward_kernelIfflEEvPT_S4_PKS3_PKlS6_iiil.has_indirect_call, 0
	.section	.AMDGPU.csdata,"",@progbits
; Kernel info:
; codeLenInByte = 1776
; TotalNumSgprs: 32
; NumVgprs: 13
; ScratchSize: 0
; MemoryBound: 0
; FloatMode: 240
; IeeeMode: 1
; LDSByteSize: 8192 bytes/workgroup (compile time only)
; SGPRBlocks: 0
; VGPRBlocks: 0
; NumSGPRsForWavesPerEU: 32
; NumVGPRsForWavesPerEU: 13
; NamedBarCnt: 0
; Occupancy: 16
; WaveLimiterHint : 1
; COMPUTE_PGM_RSRC2:SCRATCH_EN: 0
; COMPUTE_PGM_RSRC2:USER_SGPR: 2
; COMPUTE_PGM_RSRC2:TRAP_HANDLER: 0
; COMPUTE_PGM_RSRC2:TGID_X_EN: 1
; COMPUTE_PGM_RSRC2:TGID_Y_EN: 0
; COMPUTE_PGM_RSRC2:TGID_Z_EN: 0
; COMPUTE_PGM_RSRC2:TIDIG_COMP_CNT: 0
	.section	.text._ZN2at6native12_GLOBAL__N_125nll_loss2d_forward_kernelIN3c104HalfEfiEEvPT_S6_PKS5_PKlS8_iiil,"axG",@progbits,_ZN2at6native12_GLOBAL__N_125nll_loss2d_forward_kernelIN3c104HalfEfiEEvPT_S6_PKS5_PKlS8_iiil,comdat
	.globl	_ZN2at6native12_GLOBAL__N_125nll_loss2d_forward_kernelIN3c104HalfEfiEEvPT_S6_PKS5_PKlS8_iiil ; -- Begin function _ZN2at6native12_GLOBAL__N_125nll_loss2d_forward_kernelIN3c104HalfEfiEEvPT_S6_PKS5_PKlS8_iiil
	.p2align	8
	.type	_ZN2at6native12_GLOBAL__N_125nll_loss2d_forward_kernelIN3c104HalfEfiEEvPT_S6_PKS5_PKlS8_iiil,@function
_ZN2at6native12_GLOBAL__N_125nll_loss2d_forward_kernelIN3c104HalfEfiEEvPT_S6_PKS5_PKlS8_iiil: ; @_ZN2at6native12_GLOBAL__N_125nll_loss2d_forward_kernelIN3c104HalfEfiEEvPT_S6_PKS5_PKlS8_iiil
; %bb.0:
	s_clause 0x1
	s_load_b96 s[12:14], s[0:1], 0x28
	s_load_b32 s15, s[0:1], 0x4c
	s_bfe_u32 s4, ttmp6, 0x4000c
	s_and_b32 s3, ttmp6, 15
	s_add_co_i32 s4, s4, 1
	s_getreg_b32 s5, hwreg(HW_REG_IB_STS2, 6, 4)
	s_mul_i32 s4, ttmp9, s4
	v_mov_b32_e32 v4, 0
	s_add_co_i32 s3, s3, s4
	s_mov_b32 s21, -1
	v_mov_b32_e32 v2, 0
	s_wait_kmcnt 0x0
	s_cvt_f32_u32 s2, s14
	s_sub_co_i32 s6, 0, s14
	s_delay_alu instid0(SALU_CYCLE_2) | instskip(SKIP_1) | instid1(TRANS32_DEP_1)
	v_rcp_iflag_f32_e32 v1, s2
	v_nop
	v_readfirstlane_b32 s2, v1
	s_mul_f32 s2, s2, 0x4f7ffffe
	s_delay_alu instid0(SALU_CYCLE_3) | instskip(NEXT) | instid1(SALU_CYCLE_3)
	s_cvt_u32_f32 s2, s2
	s_mul_i32 s6, s6, s2
	s_delay_alu instid0(SALU_CYCLE_1) | instskip(NEXT) | instid1(SALU_CYCLE_1)
	s_mul_hi_u32 s6, s2, s6
	s_add_co_i32 s2, s2, s6
	s_cmp_eq_u32 s5, 0
	s_cselect_b32 s16, ttmp9, s3
	s_delay_alu instid0(SALU_CYCLE_1) | instskip(NEXT) | instid1(SALU_CYCLE_1)
	s_mul_hi_u32 s4, s16, s2
	s_mul_i32 s2, s4, s14
	s_add_co_i32 s6, s4, 1
	s_sub_co_i32 s5, s16, s2
	s_load_b64 s[2:3], s[0:1], 0x20
	s_sub_co_i32 s7, s5, s14
	s_cmp_ge_u32 s5, s14
	s_cselect_b32 s17, s6, s4
	s_cselect_b32 s4, s7, s5
	s_add_co_i32 s18, s17, 1
	s_cmp_ge_u32 s4, s14
	s_load_b256 s[4:11], s[0:1], 0x0
	s_cselect_b32 s17, s18, s17
	s_and_b32 s18, s15, 0xffff
	s_mul_i32 s19, s17, s14
	s_mov_b32 s15, 0
	s_sub_co_i32 s20, s16, s19
	s_mov_b32 s16, 0
	s_mul_i32 s20, s20, s18
	s_mov_b32 s19, exec_lo
	v_add_nc_u32_e32 v1, s20, v0
	s_delay_alu instid0(VALU_DEP_1)
	v_cmpx_gt_i32_e64 s13, v1
	s_cbranch_execnz .LBB10_6
; %bb.1:
	s_or_b32 exec_lo, exec_lo, s19
	s_wait_xcnt 0x0
	s_and_saveexec_b32 s0, s21
	s_wait_kmcnt 0x0
	s_xor_b32 s8, exec_lo, s0
	s_cbranch_execnz .LBB10_22
.LBB10_2:
	s_or_b32 exec_lo, exec_lo, s8
	s_mov_b32 s0, 0
	s_and_saveexec_b32 s1, s16
	s_cbranch_execnz .LBB10_48
.LBB10_3:
	s_or_b32 exec_lo, exec_lo, s1
	s_and_saveexec_b32 s1, s15
	s_cbranch_execnz .LBB10_49
.LBB10_4:
	s_or_b32 exec_lo, exec_lo, s1
	s_and_saveexec_b32 s1, s0
	s_cbranch_execnz .LBB10_50
.LBB10_5:
	s_endpgm
.LBB10_6:
	s_mul_i32 s21, s17, s13
	s_load_b64 s[16:17], s[0:1], 0x38
	v_add3_u32 v2, s20, s21, v0
	s_wait_kmcnt 0x0
	s_cmp_lg_u64 s[2:3], 0
	s_mul_i32 s14, s14, s18
	v_mov_b32_e32 v7, 0
	s_cselect_b32 s20, -1, 0
	v_dual_mov_b32 v6, 0 :: v_dual_ashrrev_i32 v3, 31, v2
	s_ashr_i32 s15, s14, 31
	s_mul_i32 s21, s21, s12
	s_mov_b32 s22, 0
	s_delay_alu instid0(VALU_DEP_1)
	v_lshl_add_u64 v[2:3], v[2:3], 3, s[10:11]
	s_lshl_b64 s[10:11], s[14:15], 3
                                        ; implicit-def: $sgpr15
                                        ; implicit-def: $sgpr1
	s_branch .LBB10_8
.LBB10_7:                               ;   in Loop: Header=BB10_8 Depth=1
	s_or_b32 exec_lo, exec_lo, s26
	s_xor_b32 s0, s0, -1
	s_xor_b32 s24, s24, -1
	s_and_b32 s23, exec_lo, s23
	s_delay_alu instid0(SALU_CYCLE_1)
	s_or_b32 s22, s23, s22
	s_and_not1_b32 s1, s1, exec_lo
	s_and_b32 s0, s0, exec_lo
	s_and_not1_b32 s15, s15, exec_lo
	s_and_b32 s23, s24, exec_lo
	s_or_b32 s1, s1, s0
	s_or_b32 s15, s15, s23
	s_and_not1_b32 exec_lo, exec_lo, s22
	s_cbranch_execz .LBB10_19
.LBB10_8:                               ; =>This Inner Loop Header: Depth=1
	s_wait_loadcnt 0x0
	global_load_b64 v[4:5], v[2:3], off
	s_mov_b32 s25, -1
	s_mov_b32 s23, exec_lo
                                        ; implicit-def: $sgpr24
                                        ; implicit-def: $sgpr0
	s_wait_loadcnt 0x0
	v_ashrrev_i32_e32 v5, 31, v4
	s_wait_xcnt 0x0
	s_delay_alu instid0(VALU_DEP_1)
	v_cmpx_ne_u64_e64 s[16:17], v[4:5]
	s_cbranch_execz .LBB10_17
; %bb.9:                                ;   in Loop: Header=BB10_8 Depth=1
	v_cmp_lt_i32_e32 vcc_lo, -1, v4
	v_cmp_gt_i32_e64 s0, s12, v4
	s_mov_b32 s24, -1
	s_mov_b32 s26, 0
	s_and_b32 s27, vcc_lo, s0
	s_mov_b32 s0, 0
	s_and_saveexec_b32 s25, s27
	s_cbranch_execz .LBB10_16
; %bb.10:                               ;   in Loop: Header=BB10_8 Depth=1
	s_and_not1_b32 vcc_lo, exec_lo, s20
	s_cbranch_vccnz .LBB10_12
; %bb.11:                               ;   in Loop: Header=BB10_8 Depth=1
	v_lshl_add_u64 v[8:9], v[4:5], 1, s[2:3]
	global_load_u16 v5, v[8:9], off
	s_branch .LBB10_13
.LBB10_12:                              ;   in Loop: Header=BB10_8 Depth=1
	v_mov_b32_e32 v5, 0x3c00
.LBB10_13:                              ;   in Loop: Header=BB10_8 Depth=1
	s_wait_xcnt 0x0
	v_add_nc_u32_e32 v8, s21, v1
	s_mov_b32 s0, exec_lo
	s_delay_alu instid0(VALU_DEP_1) | instskip(NEXT) | instid1(VALU_DEP_1)
	v_mad_u32 v4, s13, v4, v8
	v_cmpx_lt_i32_e32 -1, v4
	s_cbranch_execz .LBB10_15
; %bb.14:                               ;   in Loop: Header=BB10_8 Depth=1
	global_load_u16 v4, v4, s[8:9] scale_offset
	s_mov_b32 s26, exec_lo
	s_wait_loadcnt 0x0
	v_mul_f16_e32 v4, v5, v4
	v_cvt_f32_f16_e32 v5, v5
	s_delay_alu instid0(VALU_DEP_2) | instskip(NEXT) | instid1(VALU_DEP_1)
	v_cvt_f32_f16_e32 v4, v4
	v_dual_add_f32 v7, v7, v5 :: v_dual_sub_f32 v6, v6, v4
.LBB10_15:                              ;   in Loop: Header=BB10_8 Depth=1
	s_or_b32 exec_lo, exec_lo, s0
	s_delay_alu instid0(SALU_CYCLE_1)
	s_mov_b32 s0, exec_lo
	s_xor_b32 s24, exec_lo, -1
	s_and_b32 s26, s26, exec_lo
.LBB10_16:                              ;   in Loop: Header=BB10_8 Depth=1
	s_or_b32 exec_lo, exec_lo, s25
	s_delay_alu instid0(SALU_CYCLE_1)
	s_or_not1_b32 s25, s26, exec_lo
.LBB10_17:                              ;   in Loop: Header=BB10_8 Depth=1
	s_or_b32 exec_lo, exec_lo, s23
	s_mov_b32 s23, -1
	s_and_saveexec_b32 s26, s25
	s_cbranch_execz .LBB10_7
; %bb.18:                               ;   in Loop: Header=BB10_8 Depth=1
	v_add_nc_u32_e32 v1, s14, v1
	v_add_nc_u64_e32 v[2:3], s[10:11], v[2:3]
	s_and_not1_b32 s0, s0, exec_lo
	s_and_not1_b32 s24, s24, exec_lo
	s_delay_alu instid0(VALU_DEP_2)
	v_cmp_le_i32_e32 vcc_lo, s13, v1
	s_or_not1_b32 s23, vcc_lo, exec_lo
	s_branch .LBB10_7
.LBB10_19:
	s_or_b32 exec_lo, exec_lo, s22
	v_dual_mov_b32 v2, 0 :: v_dual_mov_b32 v4, 0
	s_mov_b32 s2, 0
	s_mov_b32 s8, -1
	s_mov_b32 s0, 0
	s_and_saveexec_b32 s3, s15
	s_delay_alu instid0(SALU_CYCLE_1)
	s_xor_b32 s3, exec_lo, s3
; %bb.20:
	v_dual_mov_b32 v2, v6 :: v_dual_mov_b32 v4, v7
	s_mov_b32 s0, exec_lo
	s_xor_b32 s8, exec_lo, -1
	s_and_b32 s2, s1, exec_lo
; %bb.21:
	s_or_b32 exec_lo, exec_lo, s3
	s_delay_alu instid0(SALU_CYCLE_1) | instskip(SKIP_4) | instid1(SALU_CYCLE_1)
	s_and_b32 s15, s8, exec_lo
	s_and_b32 s16, s0, exec_lo
	s_or_not1_b32 s21, s2, exec_lo
	s_or_b32 exec_lo, exec_lo, s19
	s_and_saveexec_b32 s0, s21
	s_xor_b32 s8, exec_lo, s0
	s_cbranch_execz .LBB10_2
.LBB10_22:
	v_mbcnt_lo_u32_b32 v6, -1, 0
	v_and_b32_e32 v9, 31, v0
	s_wait_loadcnt 0x0
	s_barrier_signal -1
	s_barrier_wait -1
	v_lshl_or_b32 v1, v6, 2, 64
	v_cmp_gt_u32_e32 vcc_lo, 24, v6
	ds_bpermute_b32 v5, v1, v4
	v_cndmask_b32_e64 v3, 0, 8, vcc_lo
	v_cmp_gt_u32_e32 vcc_lo, 28, v6
	s_delay_alu instid0(VALU_DEP_2)
	v_add_lshl_u32 v3, v3, v6, 2
	s_wait_dscnt 0x0
	v_add_f32_e32 v5, v4, v5
	v_cndmask_b32_e64 v4, 0, 4, vcc_lo
	v_cmp_gt_u32_e32 vcc_lo, 30, v6
	ds_bpermute_b32 v7, v3, v5
	v_add_lshl_u32 v4, v4, v6, 2
	s_wait_dscnt 0x0
	v_add_f32_e32 v7, v5, v7
	v_cndmask_b32_e64 v5, 0, 2, vcc_lo
	v_cmp_ne_u32_e32 vcc_lo, 31, v6
	s_delay_alu instid0(VALU_DEP_2) | instskip(SKIP_1) | instid1(VALU_DEP_1)
	v_add_lshl_u32 v5, v5, v6, 2
	v_add_co_ci_u32_e64 v6, null, 0, v6, vcc_lo
	v_lshlrev_b32_e32 v6, 2, v6
	ds_bpermute_b32 v8, v4, v7
	s_wait_dscnt 0x0
	v_add_f32_e32 v7, v7, v8
	ds_bpermute_b32 v8, v5, v7
	s_wait_dscnt 0x0
	v_add_f32_e32 v7, v7, v8
	v_lshrrev_b32_e32 v8, 3, v0
	v_cmp_eq_u32_e32 vcc_lo, 0, v9
	ds_bpermute_b32 v10, v6, v7
	s_and_saveexec_b32 s0, vcc_lo
	s_cbranch_execz .LBB10_24
; %bb.23:
	s_wait_dscnt 0x0
	v_add_f32_e32 v7, v7, v10
	ds_store_b32 v8, v7 offset:4096
.LBB10_24:
	s_or_b32 exec_lo, exec_lo, s0
	s_lshr_b32 s0, s18, 5
	v_dual_mov_b32 v7, 0 :: v_dual_lshlrev_b32 v9, 2, v9
	v_cmp_gt_u32_e64 s0, s0, v0
	s_wait_dscnt 0x0
	s_barrier_signal -1
	s_barrier_wait -1
	s_and_saveexec_b32 s1, s0
; %bb.25:
	ds_load_b32 v7, v9 offset:4096
; %bb.26:
	s_or_b32 exec_lo, exec_lo, s1
	v_cmp_gt_u32_e64 s1, 32, v0
	s_and_saveexec_b32 s2, s1
	s_cbranch_execz .LBB10_28
; %bb.27:
	s_wait_dscnt 0x0
	ds_bpermute_b32 v10, v1, v7
	s_wait_dscnt 0x0
	v_add_f32_e32 v7, v7, v10
	ds_bpermute_b32 v10, v3, v7
	s_wait_dscnt 0x0
	v_add_f32_e32 v7, v7, v10
	;; [unrolled: 3-line block ×5, first 2 shown]
.LBB10_28:
	s_or_b32 exec_lo, exec_lo, s2
	ds_bpermute_b32 v10, v1, v2
	s_wait_dscnt 0x0
	s_barrier_signal -1
	s_barrier_wait -1
	v_add_f32_e32 v2, v2, v10
	ds_bpermute_b32 v10, v3, v2
	s_wait_dscnt 0x0
	v_add_f32_e32 v2, v2, v10
	ds_bpermute_b32 v10, v4, v2
	s_wait_dscnt 0x0
	v_add_f32_e32 v2, v2, v10
	ds_bpermute_b32 v10, v5, v2
	s_wait_dscnt 0x0
	v_add_f32_e32 v2, v2, v10
	ds_bpermute_b32 v10, v6, v2
	s_and_saveexec_b32 s2, vcc_lo
	s_cbranch_execz .LBB10_30
; %bb.29:
	s_wait_dscnt 0x0
	v_add_f32_e32 v2, v2, v10
	ds_store_b32 v8, v2
.LBB10_30:
	s_or_b32 exec_lo, exec_lo, s2
	v_mov_b32_e32 v2, 0
	s_wait_dscnt 0x0
	s_barrier_signal -1
	s_barrier_wait -1
	s_and_saveexec_b32 s2, s0
; %bb.31:
	ds_load_b32 v2, v9
; %bb.32:
	s_or_b32 exec_lo, exec_lo, s2
	s_and_saveexec_b32 s0, s1
	s_cbranch_execz .LBB10_34
; %bb.33:
	s_wait_dscnt 0x0
	ds_bpermute_b32 v1, v1, v2
	s_wait_dscnt 0x0
	v_add_f32_e32 v1, v2, v1
	ds_bpermute_b32 v2, v3, v1
	s_wait_dscnt 0x0
	v_add_f32_e32 v1, v1, v2
	;; [unrolled: 3-line block ×5, first 2 shown]
.LBB10_34:
	s_or_b32 exec_lo, exec_lo, s0
	s_mov_b32 s9, 0
	s_mov_b32 s1, exec_lo
	v_cmpx_eq_u32_e32 0, v0
	s_cbranch_execz .LBB10_47
; %bb.35:
	s_and_b64 s[10:11], s[6:7], 2
	v_cvt_f16_f32_e32 v3, v7
	s_sub_nc_u64 s[2:3], 0, s[10:11]
	v_mov_b32_e32 v4, 0
	s_add_nc_u64 s[2:3], s[6:7], s[2:3]
	s_and_b32 s6, 2, s6
	s_load_b32 s7, s[2:3], 0x0
	s_cmp_eq_u64 s[10:11], 0
	s_cselect_b32 s0, -1, 0
	s_cmp_lg_u32 s6, 0
	s_cselect_b32 s6, -1, 0
	s_wait_kmcnt 0x0
	v_mov_b32_e32 v1, s7
	s_branch .LBB10_37
.LBB10_36:                              ;   in Loop: Header=BB10_37 Depth=1
	global_atomic_cmpswap_b32 v0, v4, v[0:1], s[2:3] th:TH_ATOMIC_RETURN scope:SCOPE_DEV
	s_wait_loadcnt 0x0
	v_cmp_eq_u32_e32 vcc_lo, v1, v0
	v_mov_b32_e32 v1, v0
	s_or_b32 s9, vcc_lo, s9
	s_delay_alu instid0(SALU_CYCLE_1)
	s_and_not1_b32 exec_lo, exec_lo, s9
	s_cbranch_execz .LBB10_41
.LBB10_37:                              ; =>This Inner Loop Header: Depth=1
	s_delay_alu instid0(VALU_DEP_1) | instskip(SKIP_2) | instid1(VALU_DEP_1)
	v_lshrrev_b32_e32 v0, 16, v1
	s_and_not1_b32 vcc_lo, exec_lo, s6
	s_mov_b32 s7, -1
	v_cndmask_b32_e64 v0, v0, v1, s0
	s_delay_alu instid0(VALU_DEP_1) | instskip(NEXT) | instid1(VALU_DEP_1)
	v_add_f16_e32 v0, v3, v0
	v_and_b32_e32 v5, 0xffff, v0
	s_cbranch_vccnz .LBB10_39
; %bb.38:                               ;   in Loop: Header=BB10_37 Depth=1
	v_and_b32_e32 v0, 0xffff, v1
	s_mov_b32 s7, 0
	s_delay_alu instid0(VALU_DEP_1)
	v_lshl_or_b32 v0, v5, 16, v0
.LBB10_39:                              ;   in Loop: Header=BB10_37 Depth=1
	s_and_not1_b32 vcc_lo, exec_lo, s7
	s_cbranch_vccnz .LBB10_36
; %bb.40:                               ;   in Loop: Header=BB10_37 Depth=1
	s_delay_alu instid0(VALU_DEP_1)
	v_and_or_b32 v0, 0xffff0000, v1, v5
	s_branch .LBB10_36
.LBB10_41:
	s_or_b32 exec_lo, exec_lo, s9
	s_and_b64 s[6:7], s[4:5], 2
	v_mov_b32_e32 v3, 0
	s_sub_nc_u64 s[2:3], 0, s[6:7]
	s_wait_dscnt 0x0
	v_cvt_f16_f32_e32 v2, v2
	s_add_nc_u64 s[2:3], s[4:5], s[2:3]
	s_and_b32 s4, 2, s4
	global_load_b32 v1, v3, s[2:3]
	s_cmp_eq_u64 s[6:7], 0
	s_mov_b32 s5, 0
	s_cselect_b32 s0, -1, 0
	s_cmp_lg_u32 s4, 0
	s_cselect_b32 s4, -1, 0
	s_branch .LBB10_43
.LBB10_42:                              ;   in Loop: Header=BB10_43 Depth=1
	global_atomic_cmpswap_b32 v0, v3, v[0:1], s[2:3] th:TH_ATOMIC_RETURN scope:SCOPE_DEV
	s_wait_loadcnt 0x0
	v_cmp_eq_u32_e32 vcc_lo, v1, v0
	v_mov_b32_e32 v1, v0
	s_or_b32 s5, vcc_lo, s5
	s_delay_alu instid0(SALU_CYCLE_1)
	s_and_not1_b32 exec_lo, exec_lo, s5
	s_cbranch_execz .LBB10_47
.LBB10_43:                              ; =>This Inner Loop Header: Depth=1
	s_wait_loadcnt 0x0
	v_lshrrev_b32_e32 v0, 16, v1
	s_and_not1_b32 vcc_lo, exec_lo, s4
	s_mov_b32 s6, -1
	s_delay_alu instid0(VALU_DEP_1) | instskip(NEXT) | instid1(VALU_DEP_1)
	v_cndmask_b32_e64 v0, v0, v1, s0
	v_add_f16_e32 v0, v2, v0
	s_delay_alu instid0(VALU_DEP_1)
	v_and_b32_e32 v4, 0xffff, v0
	s_cbranch_vccnz .LBB10_45
; %bb.44:                               ;   in Loop: Header=BB10_43 Depth=1
	v_and_b32_e32 v0, 0xffff, v1
	s_mov_b32 s6, 0
	s_delay_alu instid0(VALU_DEP_1)
	v_lshl_or_b32 v0, v4, 16, v0
.LBB10_45:                              ;   in Loop: Header=BB10_43 Depth=1
	s_and_not1_b32 vcc_lo, exec_lo, s6
	s_cbranch_vccnz .LBB10_42
; %bb.46:                               ;   in Loop: Header=BB10_43 Depth=1
	s_delay_alu instid0(VALU_DEP_1)
	v_and_or_b32 v0, 0xffff0000, v1, v4
	s_branch .LBB10_42
.LBB10_47:
	s_or_b32 exec_lo, exec_lo, s1
	s_delay_alu instid0(SALU_CYCLE_1)
	s_and_not1_b32 s16, s16, exec_lo
	s_or_b32 exec_lo, exec_lo, s8
	s_mov_b32 s0, 0
	s_and_saveexec_b32 s1, s16
	s_cbranch_execz .LBB10_3
.LBB10_48:
	s_mov_b32 s0, exec_lo
	s_trap 2
	s_or_b32 exec_lo, exec_lo, s1
	s_and_saveexec_b32 s1, s15
	s_cbranch_execz .LBB10_4
.LBB10_49:
	s_or_b32 s0, s0, exec_lo
	s_trap 2
	s_or_b32 exec_lo, exec_lo, s1
	s_and_saveexec_b32 s1, s0
	s_cbranch_execz .LBB10_5
.LBB10_50:
	; divergent unreachable
	s_endpgm
	.section	.rodata,"a",@progbits
	.p2align	6, 0x0
	.amdhsa_kernel _ZN2at6native12_GLOBAL__N_125nll_loss2d_forward_kernelIN3c104HalfEfiEEvPT_S6_PKS5_PKlS8_iiil
		.amdhsa_group_segment_fixed_size 8192
		.amdhsa_private_segment_fixed_size 0
		.amdhsa_kernarg_size 320
		.amdhsa_user_sgpr_count 2
		.amdhsa_user_sgpr_dispatch_ptr 0
		.amdhsa_user_sgpr_queue_ptr 0
		.amdhsa_user_sgpr_kernarg_segment_ptr 1
		.amdhsa_user_sgpr_dispatch_id 0
		.amdhsa_user_sgpr_kernarg_preload_length 0
		.amdhsa_user_sgpr_kernarg_preload_offset 0
		.amdhsa_user_sgpr_private_segment_size 0
		.amdhsa_wavefront_size32 1
		.amdhsa_uses_dynamic_stack 0
		.amdhsa_enable_private_segment 0
		.amdhsa_system_sgpr_workgroup_id_x 1
		.amdhsa_system_sgpr_workgroup_id_y 0
		.amdhsa_system_sgpr_workgroup_id_z 0
		.amdhsa_system_sgpr_workgroup_info 0
		.amdhsa_system_vgpr_workitem_id 0
		.amdhsa_next_free_vgpr 11
		.amdhsa_next_free_sgpr 28
		.amdhsa_named_barrier_count 0
		.amdhsa_reserve_vcc 1
		.amdhsa_float_round_mode_32 0
		.amdhsa_float_round_mode_16_64 0
		.amdhsa_float_denorm_mode_32 3
		.amdhsa_float_denorm_mode_16_64 3
		.amdhsa_fp16_overflow 0
		.amdhsa_memory_ordered 1
		.amdhsa_forward_progress 1
		.amdhsa_inst_pref_size 16
		.amdhsa_round_robin_scheduling 0
		.amdhsa_exception_fp_ieee_invalid_op 0
		.amdhsa_exception_fp_denorm_src 0
		.amdhsa_exception_fp_ieee_div_zero 0
		.amdhsa_exception_fp_ieee_overflow 0
		.amdhsa_exception_fp_ieee_underflow 0
		.amdhsa_exception_fp_ieee_inexact 0
		.amdhsa_exception_int_div_zero 0
	.end_amdhsa_kernel
	.section	.text._ZN2at6native12_GLOBAL__N_125nll_loss2d_forward_kernelIN3c104HalfEfiEEvPT_S6_PKS5_PKlS8_iiil,"axG",@progbits,_ZN2at6native12_GLOBAL__N_125nll_loss2d_forward_kernelIN3c104HalfEfiEEvPT_S6_PKS5_PKlS8_iiil,comdat
.Lfunc_end10:
	.size	_ZN2at6native12_GLOBAL__N_125nll_loss2d_forward_kernelIN3c104HalfEfiEEvPT_S6_PKS5_PKlS8_iiil, .Lfunc_end10-_ZN2at6native12_GLOBAL__N_125nll_loss2d_forward_kernelIN3c104HalfEfiEEvPT_S6_PKS5_PKlS8_iiil
                                        ; -- End function
	.set _ZN2at6native12_GLOBAL__N_125nll_loss2d_forward_kernelIN3c104HalfEfiEEvPT_S6_PKS5_PKlS8_iiil.num_vgpr, 11
	.set _ZN2at6native12_GLOBAL__N_125nll_loss2d_forward_kernelIN3c104HalfEfiEEvPT_S6_PKS5_PKlS8_iiil.num_agpr, 0
	.set _ZN2at6native12_GLOBAL__N_125nll_loss2d_forward_kernelIN3c104HalfEfiEEvPT_S6_PKS5_PKlS8_iiil.numbered_sgpr, 28
	.set _ZN2at6native12_GLOBAL__N_125nll_loss2d_forward_kernelIN3c104HalfEfiEEvPT_S6_PKS5_PKlS8_iiil.num_named_barrier, 0
	.set _ZN2at6native12_GLOBAL__N_125nll_loss2d_forward_kernelIN3c104HalfEfiEEvPT_S6_PKS5_PKlS8_iiil.private_seg_size, 0
	.set _ZN2at6native12_GLOBAL__N_125nll_loss2d_forward_kernelIN3c104HalfEfiEEvPT_S6_PKS5_PKlS8_iiil.uses_vcc, 1
	.set _ZN2at6native12_GLOBAL__N_125nll_loss2d_forward_kernelIN3c104HalfEfiEEvPT_S6_PKS5_PKlS8_iiil.uses_flat_scratch, 0
	.set _ZN2at6native12_GLOBAL__N_125nll_loss2d_forward_kernelIN3c104HalfEfiEEvPT_S6_PKS5_PKlS8_iiil.has_dyn_sized_stack, 0
	.set _ZN2at6native12_GLOBAL__N_125nll_loss2d_forward_kernelIN3c104HalfEfiEEvPT_S6_PKS5_PKlS8_iiil.has_recursion, 0
	.set _ZN2at6native12_GLOBAL__N_125nll_loss2d_forward_kernelIN3c104HalfEfiEEvPT_S6_PKS5_PKlS8_iiil.has_indirect_call, 0
	.section	.AMDGPU.csdata,"",@progbits
; Kernel info:
; codeLenInByte = 1940
; TotalNumSgprs: 30
; NumVgprs: 11
; ScratchSize: 0
; MemoryBound: 0
; FloatMode: 240
; IeeeMode: 1
; LDSByteSize: 8192 bytes/workgroup (compile time only)
; SGPRBlocks: 0
; VGPRBlocks: 0
; NumSGPRsForWavesPerEU: 30
; NumVGPRsForWavesPerEU: 11
; NamedBarCnt: 0
; Occupancy: 16
; WaveLimiterHint : 1
; COMPUTE_PGM_RSRC2:SCRATCH_EN: 0
; COMPUTE_PGM_RSRC2:USER_SGPR: 2
; COMPUTE_PGM_RSRC2:TRAP_HANDLER: 0
; COMPUTE_PGM_RSRC2:TGID_X_EN: 1
; COMPUTE_PGM_RSRC2:TGID_Y_EN: 0
; COMPUTE_PGM_RSRC2:TGID_Z_EN: 0
; COMPUTE_PGM_RSRC2:TIDIG_COMP_CNT: 0
	.section	.text._ZN2at6native12_GLOBAL__N_138nll_loss2d_forward_size_average_kernelIN3c104HalfEEEvPT_PKS5_,"axG",@progbits,_ZN2at6native12_GLOBAL__N_138nll_loss2d_forward_size_average_kernelIN3c104HalfEEEvPT_PKS5_,comdat
	.globl	_ZN2at6native12_GLOBAL__N_138nll_loss2d_forward_size_average_kernelIN3c104HalfEEEvPT_PKS5_ ; -- Begin function _ZN2at6native12_GLOBAL__N_138nll_loss2d_forward_size_average_kernelIN3c104HalfEEEvPT_PKS5_
	.p2align	8
	.type	_ZN2at6native12_GLOBAL__N_138nll_loss2d_forward_size_average_kernelIN3c104HalfEEEvPT_PKS5_,@function
_ZN2at6native12_GLOBAL__N_138nll_loss2d_forward_size_average_kernelIN3c104HalfEEEvPT_PKS5_: ; @_ZN2at6native12_GLOBAL__N_138nll_loss2d_forward_size_average_kernelIN3c104HalfEEEvPT_PKS5_
; %bb.0:
	s_load_b128 s[0:3], s[0:1], 0x0
	v_mov_b32_e32 v0, 0
	s_wait_kmcnt 0x0
	s_clause 0x1
	global_load_u16 v1, v0, s[2:3]
	global_load_u16 v2, v0, s[0:1]
	s_wait_loadcnt 0x1
	v_cvt_f32_f16_e32 v3, v1
	s_wait_loadcnt 0x0
	v_cvt_f32_f16_e32 v4, v2
	s_delay_alu instid0(VALU_DEP_2) | instskip(SKIP_1) | instid1(TRANS32_DEP_1)
	v_rcp_f32_e32 v3, v3
	v_nop
	v_mul_f32_e32 v4, v4, v3
	s_delay_alu instid0(VALU_DEP_1) | instskip(NEXT) | instid1(VALU_DEP_1)
	v_fma_mix_f32 v5, -v1, v4, v2 op_sel_hi:[1,0,1]
	v_fmac_f32_e32 v4, v5, v3
	s_delay_alu instid0(VALU_DEP_1) | instskip(NEXT) | instid1(VALU_DEP_1)
	v_fma_mix_f32 v5, -v1, v4, v2 op_sel_hi:[1,0,1]
	v_mul_f32_e32 v3, v5, v3
	s_delay_alu instid0(VALU_DEP_1) | instskip(NEXT) | instid1(VALU_DEP_1)
	v_and_b32_e32 v3, 0xff800000, v3
	v_add_f32_e32 v3, v3, v4
	s_delay_alu instid0(VALU_DEP_1) | instskip(NEXT) | instid1(VALU_DEP_1)
	v_cvt_f16_f32_e32 v3, v3
	v_div_fixup_f16 v1, v3, v1, v2
	global_store_b16 v0, v1, s[0:1]
	s_endpgm
	.section	.rodata,"a",@progbits
	.p2align	6, 0x0
	.amdhsa_kernel _ZN2at6native12_GLOBAL__N_138nll_loss2d_forward_size_average_kernelIN3c104HalfEEEvPT_PKS5_
		.amdhsa_group_segment_fixed_size 0
		.amdhsa_private_segment_fixed_size 0
		.amdhsa_kernarg_size 16
		.amdhsa_user_sgpr_count 2
		.amdhsa_user_sgpr_dispatch_ptr 0
		.amdhsa_user_sgpr_queue_ptr 0
		.amdhsa_user_sgpr_kernarg_segment_ptr 1
		.amdhsa_user_sgpr_dispatch_id 0
		.amdhsa_user_sgpr_kernarg_preload_length 0
		.amdhsa_user_sgpr_kernarg_preload_offset 0
		.amdhsa_user_sgpr_private_segment_size 0
		.amdhsa_wavefront_size32 1
		.amdhsa_uses_dynamic_stack 0
		.amdhsa_enable_private_segment 0
		.amdhsa_system_sgpr_workgroup_id_x 1
		.amdhsa_system_sgpr_workgroup_id_y 0
		.amdhsa_system_sgpr_workgroup_id_z 0
		.amdhsa_system_sgpr_workgroup_info 0
		.amdhsa_system_vgpr_workitem_id 0
		.amdhsa_next_free_vgpr 6
		.amdhsa_next_free_sgpr 4
		.amdhsa_named_barrier_count 0
		.amdhsa_reserve_vcc 0
		.amdhsa_float_round_mode_32 0
		.amdhsa_float_round_mode_16_64 0
		.amdhsa_float_denorm_mode_32 3
		.amdhsa_float_denorm_mode_16_64 3
		.amdhsa_fp16_overflow 0
		.amdhsa_memory_ordered 1
		.amdhsa_forward_progress 1
		.amdhsa_inst_pref_size 2
		.amdhsa_round_robin_scheduling 0
		.amdhsa_exception_fp_ieee_invalid_op 0
		.amdhsa_exception_fp_denorm_src 0
		.amdhsa_exception_fp_ieee_div_zero 0
		.amdhsa_exception_fp_ieee_overflow 0
		.amdhsa_exception_fp_ieee_underflow 0
		.amdhsa_exception_fp_ieee_inexact 0
		.amdhsa_exception_int_div_zero 0
	.end_amdhsa_kernel
	.section	.text._ZN2at6native12_GLOBAL__N_138nll_loss2d_forward_size_average_kernelIN3c104HalfEEEvPT_PKS5_,"axG",@progbits,_ZN2at6native12_GLOBAL__N_138nll_loss2d_forward_size_average_kernelIN3c104HalfEEEvPT_PKS5_,comdat
.Lfunc_end11:
	.size	_ZN2at6native12_GLOBAL__N_138nll_loss2d_forward_size_average_kernelIN3c104HalfEEEvPT_PKS5_, .Lfunc_end11-_ZN2at6native12_GLOBAL__N_138nll_loss2d_forward_size_average_kernelIN3c104HalfEEEvPT_PKS5_
                                        ; -- End function
	.set _ZN2at6native12_GLOBAL__N_138nll_loss2d_forward_size_average_kernelIN3c104HalfEEEvPT_PKS5_.num_vgpr, 6
	.set _ZN2at6native12_GLOBAL__N_138nll_loss2d_forward_size_average_kernelIN3c104HalfEEEvPT_PKS5_.num_agpr, 0
	.set _ZN2at6native12_GLOBAL__N_138nll_loss2d_forward_size_average_kernelIN3c104HalfEEEvPT_PKS5_.numbered_sgpr, 4
	.set _ZN2at6native12_GLOBAL__N_138nll_loss2d_forward_size_average_kernelIN3c104HalfEEEvPT_PKS5_.num_named_barrier, 0
	.set _ZN2at6native12_GLOBAL__N_138nll_loss2d_forward_size_average_kernelIN3c104HalfEEEvPT_PKS5_.private_seg_size, 0
	.set _ZN2at6native12_GLOBAL__N_138nll_loss2d_forward_size_average_kernelIN3c104HalfEEEvPT_PKS5_.uses_vcc, 0
	.set _ZN2at6native12_GLOBAL__N_138nll_loss2d_forward_size_average_kernelIN3c104HalfEEEvPT_PKS5_.uses_flat_scratch, 0
	.set _ZN2at6native12_GLOBAL__N_138nll_loss2d_forward_size_average_kernelIN3c104HalfEEEvPT_PKS5_.has_dyn_sized_stack, 0
	.set _ZN2at6native12_GLOBAL__N_138nll_loss2d_forward_size_average_kernelIN3c104HalfEEEvPT_PKS5_.has_recursion, 0
	.set _ZN2at6native12_GLOBAL__N_138nll_loss2d_forward_size_average_kernelIN3c104HalfEEEvPT_PKS5_.has_indirect_call, 0
	.section	.AMDGPU.csdata,"",@progbits
; Kernel info:
; codeLenInByte = 156
; TotalNumSgprs: 4
; NumVgprs: 6
; ScratchSize: 0
; MemoryBound: 0
; FloatMode: 240
; IeeeMode: 1
; LDSByteSize: 0 bytes/workgroup (compile time only)
; SGPRBlocks: 0
; VGPRBlocks: 0
; NumSGPRsForWavesPerEU: 4
; NumVGPRsForWavesPerEU: 6
; NamedBarCnt: 0
; Occupancy: 16
; WaveLimiterHint : 0
; COMPUTE_PGM_RSRC2:SCRATCH_EN: 0
; COMPUTE_PGM_RSRC2:USER_SGPR: 2
; COMPUTE_PGM_RSRC2:TRAP_HANDLER: 0
; COMPUTE_PGM_RSRC2:TGID_X_EN: 1
; COMPUTE_PGM_RSRC2:TGID_Y_EN: 0
; COMPUTE_PGM_RSRC2:TGID_Z_EN: 0
; COMPUTE_PGM_RSRC2:TIDIG_COMP_CNT: 0
	.section	.text._ZN2at6native12_GLOBAL__N_125nll_loss2d_forward_kernelIN3c104HalfEflEEvPT_S6_PKS5_PKlS8_iiil,"axG",@progbits,_ZN2at6native12_GLOBAL__N_125nll_loss2d_forward_kernelIN3c104HalfEflEEvPT_S6_PKS5_PKlS8_iiil,comdat
	.globl	_ZN2at6native12_GLOBAL__N_125nll_loss2d_forward_kernelIN3c104HalfEflEEvPT_S6_PKS5_PKlS8_iiil ; -- Begin function _ZN2at6native12_GLOBAL__N_125nll_loss2d_forward_kernelIN3c104HalfEflEEvPT_S6_PKS5_PKlS8_iiil
	.p2align	8
	.type	_ZN2at6native12_GLOBAL__N_125nll_loss2d_forward_kernelIN3c104HalfEflEEvPT_S6_PKS5_PKlS8_iiil,@function
_ZN2at6native12_GLOBAL__N_125nll_loss2d_forward_kernelIN3c104HalfEflEEvPT_S6_PKS5_PKlS8_iiil: ; @_ZN2at6native12_GLOBAL__N_125nll_loss2d_forward_kernelIN3c104HalfEflEEvPT_S6_PKS5_PKlS8_iiil
; %bb.0:
	s_clause 0x1
	s_load_b96 s[12:14], s[0:1], 0x28
	s_load_b32 s3, s[0:1], 0x4c
	s_bfe_u32 s5, ttmp6, 0x4000c
	s_and_b32 s4, ttmp6, 15
	s_add_co_i32 s5, s5, 1
	s_getreg_b32 s6, hwreg(HW_REG_IB_STS2, 6, 4)
	s_mul_i32 s5, ttmp9, s5
	s_load_b64 s[16:17], s[0:1], 0x20
	s_add_co_i32 s4, s4, s5
	v_dual_mov_b32 v4, 0 :: v_dual_mov_b32 v5, 0
	s_mov_b32 s23, exec_lo
	s_wait_kmcnt 0x0
	s_cvt_f32_u32 s2, s14
	s_sub_co_i32 s7, 0, s14
	s_delay_alu instid0(SALU_CYCLE_2) | instskip(SKIP_1) | instid1(TRANS32_DEP_1)
	v_rcp_iflag_f32_e32 v1, s2
	v_nop
	v_readfirstlane_b32 s2, v1
	s_mul_f32 s2, s2, 0x4f7ffffe
	s_delay_alu instid0(SALU_CYCLE_3) | instskip(NEXT) | instid1(SALU_CYCLE_3)
	s_cvt_u32_f32 s2, s2
	s_mul_i32 s7, s7, s2
	s_delay_alu instid0(SALU_CYCLE_1) | instskip(NEXT) | instid1(SALU_CYCLE_1)
	s_mul_hi_u32 s7, s2, s7
	s_add_co_i32 s2, s2, s7
	s_cmp_eq_u32 s6, 0
	s_cselect_b32 s15, ttmp9, s4
	s_delay_alu instid0(SALU_CYCLE_1) | instskip(NEXT) | instid1(SALU_CYCLE_1)
	s_mul_hi_u32 s2, s15, s2
	s_mul_i32 s4, s2, s14
	s_add_co_i32 s5, s2, 1
	s_sub_co_i32 s4, s15, s4
	s_delay_alu instid0(SALU_CYCLE_1)
	s_sub_co_i32 s6, s4, s14
	s_cmp_ge_u32 s4, s14
	s_cselect_b32 s2, s5, s2
	s_cselect_b32 s4, s6, s4
	s_add_co_i32 s5, s2, 1
	s_cmp_ge_u32 s4, s14
	s_cselect_b32 s2, s5, s2
	s_load_b256 s[4:11], s[0:1], 0x0
	s_mul_i32 s18, s2, s14
	s_and_b32 s22, s3, 0xffff
	s_sub_co_i32 s3, s15, s18
	s_mov_b32 s18, 0
	v_mad_u32 v2, s3, s22, v0
	s_mov_b32 s3, -1
	s_mov_b32 s15, 0
	s_delay_alu instid0(VALU_DEP_1)
	v_cmpx_gt_i32_e64 s13, v2
	s_cbranch_execnz .LBB12_6
; %bb.1:
	s_or_b32 exec_lo, exec_lo, s23
	s_wait_xcnt 0x0
	s_and_saveexec_b32 s0, s3
	s_wait_kmcnt 0x0
	s_xor_b32 s8, exec_lo, s0
	s_cbranch_execnz .LBB12_22
.LBB12_2:
	s_or_b32 exec_lo, exec_lo, s8
	s_mov_b32 s0, 0
	s_and_saveexec_b32 s1, s18
	s_cbranch_execnz .LBB12_48
.LBB12_3:
	s_or_b32 exec_lo, exec_lo, s1
	s_and_saveexec_b32 s1, s15
	s_cbranch_execnz .LBB12_49
.LBB12_4:
	s_or_b32 exec_lo, exec_lo, s1
	s_and_saveexec_b32 s1, s0
	s_cbranch_execnz .LBB12_50
.LBB12_5:
	s_endpgm
.LBB12_6:
	v_dual_ashrrev_i32 v3, 31, v2 :: v_dual_mov_b32 v1, 0
	s_mov_b32 s3, 0
	s_ashr_i32 s19, s13, 31
	s_mov_b32 s18, s13
	s_load_b64 s[20:21], s[0:1], 0x38
	s_mul_u64 s[24:25], s[2:3], s[18:19]
	s_ashr_i32 s13, s12, 31
	v_mad_nc_u64_u32 v[4:5], s24, s12, v[2:3]
	s_cmp_lg_u64 s[16:17], 0
	s_mul_i32 s15, s25, s12
	s_cselect_b32 s2, -1, 0
	s_wait_xcnt 0x0
	s_lshl_b64 s[0:1], s[24:25], 3
	s_mul_i32 s14, s14, s22
	s_wait_kmcnt 0x0
	s_add_nc_u64 s[0:1], s[10:11], s[0:1]
	s_mul_i32 s10, s24, s13
	v_lshl_add_u64 v[6:7], v[2:3], 3, s[0:1]
	v_mov_b32_e32 v3, 0
                                        ; implicit-def: $sgpr24
                                        ; implicit-def: $sgpr1
	v_add3_u32 v5, s10, s15, v5
	s_ashr_i32 s15, s14, 31
	s_delay_alu instid0(SALU_CYCLE_1)
	s_lshl_b64 s[10:11], s[14:15], 3
	s_branch .LBB12_8
.LBB12_7:                               ;   in Loop: Header=BB12_8 Depth=1
	s_or_b32 exec_lo, exec_lo, s28
	s_xor_b32 s0, s0, -1
	s_xor_b32 s26, s26, -1
	s_and_b32 s25, exec_lo, s25
	s_delay_alu instid0(SALU_CYCLE_1)
	s_or_b32 s3, s25, s3
	s_and_not1_b32 s1, s1, exec_lo
	s_and_b32 s0, s0, exec_lo
	s_and_not1_b32 s24, s24, exec_lo
	s_and_b32 s25, s26, exec_lo
	s_or_b32 s1, s1, s0
	s_or_b32 s24, s24, s25
	s_and_not1_b32 exec_lo, exec_lo, s3
	s_cbranch_execz .LBB12_19
.LBB12_8:                               ; =>This Inner Loop Header: Depth=1
	global_load_b64 v[8:9], v[6:7], off
	s_mov_b32 s27, -1
	s_mov_b32 s25, exec_lo
                                        ; implicit-def: $sgpr26
                                        ; implicit-def: $sgpr0
	s_wait_loadcnt 0x0
	s_wait_xcnt 0x0
	v_cmpx_ne_u64_e64 s[20:21], v[8:9]
	s_cbranch_execz .LBB12_17
; %bb.9:                                ;   in Loop: Header=BB12_8 Depth=1
	v_cmp_lt_i64_e32 vcc_lo, -1, v[8:9]
	v_cmp_gt_i64_e64 s0, s[12:13], v[8:9]
	s_mov_b32 s26, -1
	s_mov_b32 s28, 0
	s_and_b32 s29, vcc_lo, s0
	s_mov_b32 s0, 0
	s_and_saveexec_b32 s27, s29
	s_cbranch_execz .LBB12_16
; %bb.10:                               ;   in Loop: Header=BB12_8 Depth=1
	s_and_not1_b32 vcc_lo, exec_lo, s2
	s_cbranch_vccnz .LBB12_12
; %bb.11:                               ;   in Loop: Header=BB12_8 Depth=1
	v_lshl_add_u64 v[10:11], v[8:9], 1, s[16:17]
	global_load_u16 v12, v[10:11], off
	s_branch .LBB12_13
.LBB12_12:                              ;   in Loop: Header=BB12_8 Depth=1
	v_mov_b32_e32 v12, 0x3c00
.LBB12_13:                              ;   in Loop: Header=BB12_8 Depth=1
	s_wait_xcnt 0x0
	v_mad_nc_u64_u32 v[10:11], v8, s18, v[4:5]
	s_mov_b32 s0, exec_lo
	s_delay_alu instid0(VALU_DEP_1) | instskip(NEXT) | instid1(VALU_DEP_1)
	v_mad_u32 v9, v9, s18, v11
	v_mad_u32 v11, v8, s19, v9
	s_delay_alu instid0(VALU_DEP_1)
	v_cmpx_lt_i64_e32 -1, v[10:11]
	s_cbranch_execz .LBB12_15
; %bb.14:                               ;   in Loop: Header=BB12_8 Depth=1
	v_lshl_add_u64 v[8:9], v[10:11], 1, s[8:9]
	s_mov_b32 s28, exec_lo
	global_load_u16 v8, v[8:9], off
	s_wait_loadcnt 0x1
	s_wait_xcnt 0x0
	v_cvt_f32_f16_e32 v9, v12
	s_delay_alu instid0(VALU_DEP_1) | instskip(SKIP_2) | instid1(VALU_DEP_1)
	v_add_f32_e32 v3, v3, v9
	s_wait_loadcnt 0x0
	v_mul_f16_e32 v8, v12, v8
	v_cvt_f32_f16_e32 v8, v8
	s_delay_alu instid0(VALU_DEP_1)
	v_sub_f32_e32 v1, v1, v8
.LBB12_15:                              ;   in Loop: Header=BB12_8 Depth=1
	s_or_b32 exec_lo, exec_lo, s0
	s_delay_alu instid0(SALU_CYCLE_1)
	s_mov_b32 s0, exec_lo
	s_xor_b32 s26, exec_lo, -1
	s_and_b32 s28, s28, exec_lo
.LBB12_16:                              ;   in Loop: Header=BB12_8 Depth=1
	s_or_b32 exec_lo, exec_lo, s27
	s_delay_alu instid0(SALU_CYCLE_1)
	s_or_not1_b32 s27, s28, exec_lo
.LBB12_17:                              ;   in Loop: Header=BB12_8 Depth=1
	s_or_b32 exec_lo, exec_lo, s25
	s_mov_b32 s25, -1
	s_and_saveexec_b32 s28, s27
	s_cbranch_execz .LBB12_7
; %bb.18:                               ;   in Loop: Header=BB12_8 Depth=1
	v_add_nc_u32_e32 v2, s14, v2
	v_add_nc_u64_e32 v[6:7], s[10:11], v[6:7]
	v_add_nc_u64_e32 v[4:5], s[14:15], v[4:5]
	s_and_not1_b32 s0, s0, exec_lo
	s_and_not1_b32 s26, s26, exec_lo
	v_cmp_le_i32_e32 vcc_lo, s18, v2
	s_or_not1_b32 s25, vcc_lo, exec_lo
	s_branch .LBB12_7
.LBB12_19:
	s_or_b32 exec_lo, exec_lo, s3
	v_dual_mov_b32 v4, 0 :: v_dual_mov_b32 v5, 0
	s_mov_b32 s2, 0
	s_mov_b32 s8, -1
	s_mov_b32 s0, 0
	s_and_saveexec_b32 s3, s24
	s_delay_alu instid0(SALU_CYCLE_1)
	s_xor_b32 s3, exec_lo, s3
; %bb.20:
	v_dual_mov_b32 v4, v1 :: v_dual_mov_b32 v5, v3
	s_mov_b32 s0, exec_lo
	s_xor_b32 s8, exec_lo, -1
	s_and_b32 s2, s1, exec_lo
; %bb.21:
	s_or_b32 exec_lo, exec_lo, s3
	s_delay_alu instid0(SALU_CYCLE_1) | instskip(SKIP_4) | instid1(SALU_CYCLE_1)
	s_and_b32 s15, s8, exec_lo
	s_and_b32 s18, s0, exec_lo
	s_or_not1_b32 s3, s2, exec_lo
	s_or_b32 exec_lo, exec_lo, s23
	s_and_saveexec_b32 s0, s3
	s_xor_b32 s8, exec_lo, s0
	s_cbranch_execz .LBB12_2
.LBB12_22:
	v_mbcnt_lo_u32_b32 v6, -1, 0
	v_and_b32_e32 v9, 31, v0
	s_wait_loadcnt 0x0
	s_barrier_signal -1
	s_barrier_wait -1
	v_lshl_or_b32 v1, v6, 2, 64
	v_cmp_gt_u32_e32 vcc_lo, 24, v6
	ds_bpermute_b32 v3, v1, v5
	v_cndmask_b32_e64 v2, 0, 8, vcc_lo
	v_cmp_gt_u32_e32 vcc_lo, 28, v6
	s_delay_alu instid0(VALU_DEP_2)
	v_add_lshl_u32 v2, v2, v6, 2
	s_wait_dscnt 0x0
	v_add_f32_e32 v5, v5, v3
	v_cndmask_b32_e64 v3, 0, 4, vcc_lo
	v_cmp_gt_u32_e32 vcc_lo, 30, v6
	ds_bpermute_b32 v7, v2, v5
	v_add_lshl_u32 v3, v3, v6, 2
	s_wait_dscnt 0x0
	v_add_f32_e32 v7, v5, v7
	v_cndmask_b32_e64 v5, 0, 2, vcc_lo
	v_cmp_ne_u32_e32 vcc_lo, 31, v6
	s_delay_alu instid0(VALU_DEP_2) | instskip(SKIP_1) | instid1(VALU_DEP_1)
	v_add_lshl_u32 v5, v5, v6, 2
	v_add_co_ci_u32_e64 v6, null, 0, v6, vcc_lo
	v_lshlrev_b32_e32 v6, 2, v6
	ds_bpermute_b32 v8, v3, v7
	s_wait_dscnt 0x0
	v_add_f32_e32 v7, v7, v8
	ds_bpermute_b32 v8, v5, v7
	s_wait_dscnt 0x0
	v_add_f32_e32 v7, v7, v8
	v_lshrrev_b32_e32 v8, 3, v0
	v_cmp_eq_u32_e32 vcc_lo, 0, v9
	ds_bpermute_b32 v10, v6, v7
	s_and_saveexec_b32 s0, vcc_lo
	s_cbranch_execz .LBB12_24
; %bb.23:
	s_wait_dscnt 0x0
	v_add_f32_e32 v7, v7, v10
	ds_store_b32 v8, v7 offset:4096
.LBB12_24:
	s_or_b32 exec_lo, exec_lo, s0
	s_lshr_b32 s0, s22, 5
	v_dual_mov_b32 v7, 0 :: v_dual_lshlrev_b32 v9, 2, v9
	v_cmp_gt_u32_e64 s0, s0, v0
	s_wait_dscnt 0x0
	s_barrier_signal -1
	s_barrier_wait -1
	s_and_saveexec_b32 s1, s0
; %bb.25:
	ds_load_b32 v7, v9 offset:4096
; %bb.26:
	s_or_b32 exec_lo, exec_lo, s1
	v_cmp_gt_u32_e64 s1, 32, v0
	s_and_saveexec_b32 s2, s1
	s_cbranch_execz .LBB12_28
; %bb.27:
	s_wait_dscnt 0x0
	ds_bpermute_b32 v10, v1, v7
	s_wait_dscnt 0x0
	v_add_f32_e32 v7, v7, v10
	ds_bpermute_b32 v10, v2, v7
	s_wait_dscnt 0x0
	v_add_f32_e32 v7, v7, v10
	;; [unrolled: 3-line block ×5, first 2 shown]
.LBB12_28:
	s_or_b32 exec_lo, exec_lo, s2
	ds_bpermute_b32 v10, v1, v4
	s_wait_dscnt 0x0
	s_barrier_signal -1
	s_barrier_wait -1
	v_add_f32_e32 v4, v4, v10
	ds_bpermute_b32 v10, v2, v4
	s_wait_dscnt 0x0
	v_add_f32_e32 v4, v4, v10
	ds_bpermute_b32 v10, v3, v4
	s_wait_dscnt 0x0
	;; [unrolled: 3-line block ×3, first 2 shown]
	v_add_f32_e32 v4, v4, v10
	ds_bpermute_b32 v10, v6, v4
	s_and_saveexec_b32 s2, vcc_lo
	s_cbranch_execz .LBB12_30
; %bb.29:
	s_wait_dscnt 0x0
	v_add_f32_e32 v4, v4, v10
	ds_store_b32 v8, v4
.LBB12_30:
	s_or_b32 exec_lo, exec_lo, s2
	v_mov_b32_e32 v4, 0
	s_wait_dscnt 0x0
	s_barrier_signal -1
	s_barrier_wait -1
	s_and_saveexec_b32 s2, s0
; %bb.31:
	ds_load_b32 v4, v9
; %bb.32:
	s_or_b32 exec_lo, exec_lo, s2
	s_and_saveexec_b32 s0, s1
	s_cbranch_execz .LBB12_34
; %bb.33:
	s_wait_dscnt 0x0
	ds_bpermute_b32 v1, v1, v4
	s_wait_dscnt 0x0
	v_add_f32_e32 v1, v4, v1
	ds_bpermute_b32 v2, v2, v1
	s_wait_dscnt 0x0
	v_add_f32_e32 v1, v1, v2
	;; [unrolled: 3-line block ×5, first 2 shown]
.LBB12_34:
	s_or_b32 exec_lo, exec_lo, s0
	s_mov_b32 s9, 0
	s_mov_b32 s1, exec_lo
	v_cmpx_eq_u32_e32 0, v0
	s_cbranch_execz .LBB12_47
; %bb.35:
	s_and_b64 s[10:11], s[6:7], 2
	v_cvt_f16_f32_e32 v2, v7
	s_sub_nc_u64 s[2:3], 0, s[10:11]
	v_mov_b32_e32 v3, 0
	s_add_nc_u64 s[2:3], s[6:7], s[2:3]
	s_and_b32 s6, 2, s6
	s_load_b32 s7, s[2:3], 0x0
	s_cmp_eq_u64 s[10:11], 0
	s_cselect_b32 s0, -1, 0
	s_cmp_lg_u32 s6, 0
	s_cselect_b32 s6, -1, 0
	s_wait_kmcnt 0x0
	v_mov_b32_e32 v1, s7
	s_branch .LBB12_37
.LBB12_36:                              ;   in Loop: Header=BB12_37 Depth=1
	global_atomic_cmpswap_b32 v0, v3, v[0:1], s[2:3] th:TH_ATOMIC_RETURN scope:SCOPE_DEV
	s_wait_loadcnt 0x0
	v_cmp_eq_u32_e32 vcc_lo, v1, v0
	v_mov_b32_e32 v1, v0
	s_or_b32 s9, vcc_lo, s9
	s_delay_alu instid0(SALU_CYCLE_1)
	s_and_not1_b32 exec_lo, exec_lo, s9
	s_cbranch_execz .LBB12_41
.LBB12_37:                              ; =>This Inner Loop Header: Depth=1
	s_delay_alu instid0(VALU_DEP_1) | instskip(SKIP_2) | instid1(VALU_DEP_1)
	v_lshrrev_b32_e32 v0, 16, v1
	s_and_not1_b32 vcc_lo, exec_lo, s6
	s_mov_b32 s7, -1
	v_cndmask_b32_e64 v0, v0, v1, s0
	s_delay_alu instid0(VALU_DEP_1) | instskip(NEXT) | instid1(VALU_DEP_1)
	v_add_f16_e32 v0, v2, v0
	v_and_b32_e32 v5, 0xffff, v0
	s_cbranch_vccnz .LBB12_39
; %bb.38:                               ;   in Loop: Header=BB12_37 Depth=1
	v_and_b32_e32 v0, 0xffff, v1
	s_mov_b32 s7, 0
	s_delay_alu instid0(VALU_DEP_1)
	v_lshl_or_b32 v0, v5, 16, v0
.LBB12_39:                              ;   in Loop: Header=BB12_37 Depth=1
	s_and_not1_b32 vcc_lo, exec_lo, s7
	s_cbranch_vccnz .LBB12_36
; %bb.40:                               ;   in Loop: Header=BB12_37 Depth=1
	s_delay_alu instid0(VALU_DEP_1)
	v_and_or_b32 v0, 0xffff0000, v1, v5
	s_branch .LBB12_36
.LBB12_41:
	s_or_b32 exec_lo, exec_lo, s9
	s_and_b64 s[6:7], s[4:5], 2
	v_mov_b32_e32 v2, 0
	s_sub_nc_u64 s[2:3], 0, s[6:7]
	s_wait_dscnt 0x0
	v_cvt_f16_f32_e32 v3, v4
	s_add_nc_u64 s[2:3], s[4:5], s[2:3]
	s_and_b32 s4, 2, s4
	global_load_b32 v1, v2, s[2:3]
	s_cmp_eq_u64 s[6:7], 0
	s_mov_b32 s5, 0
	s_cselect_b32 s0, -1, 0
	s_cmp_lg_u32 s4, 0
	s_cselect_b32 s4, -1, 0
	s_branch .LBB12_43
.LBB12_42:                              ;   in Loop: Header=BB12_43 Depth=1
	global_atomic_cmpswap_b32 v0, v2, v[0:1], s[2:3] th:TH_ATOMIC_RETURN scope:SCOPE_DEV
	s_wait_loadcnt 0x0
	v_cmp_eq_u32_e32 vcc_lo, v1, v0
	v_mov_b32_e32 v1, v0
	s_or_b32 s5, vcc_lo, s5
	s_delay_alu instid0(SALU_CYCLE_1)
	s_and_not1_b32 exec_lo, exec_lo, s5
	s_cbranch_execz .LBB12_47
.LBB12_43:                              ; =>This Inner Loop Header: Depth=1
	s_wait_loadcnt 0x0
	v_lshrrev_b32_e32 v0, 16, v1
	s_and_not1_b32 vcc_lo, exec_lo, s4
	s_mov_b32 s6, -1
	s_delay_alu instid0(VALU_DEP_1) | instskip(NEXT) | instid1(VALU_DEP_1)
	v_cndmask_b32_e64 v0, v0, v1, s0
	v_add_f16_e32 v0, v3, v0
	s_delay_alu instid0(VALU_DEP_1)
	v_and_b32_e32 v4, 0xffff, v0
	s_cbranch_vccnz .LBB12_45
; %bb.44:                               ;   in Loop: Header=BB12_43 Depth=1
	v_and_b32_e32 v0, 0xffff, v1
	s_mov_b32 s6, 0
	s_delay_alu instid0(VALU_DEP_1)
	v_lshl_or_b32 v0, v4, 16, v0
.LBB12_45:                              ;   in Loop: Header=BB12_43 Depth=1
	s_and_not1_b32 vcc_lo, exec_lo, s6
	s_cbranch_vccnz .LBB12_42
; %bb.46:                               ;   in Loop: Header=BB12_43 Depth=1
	s_delay_alu instid0(VALU_DEP_1)
	v_and_or_b32 v0, 0xffff0000, v1, v4
	s_branch .LBB12_42
.LBB12_47:
	s_or_b32 exec_lo, exec_lo, s1
	s_delay_alu instid0(SALU_CYCLE_1)
	s_and_not1_b32 s18, s18, exec_lo
	s_or_b32 exec_lo, exec_lo, s8
	s_mov_b32 s0, 0
	s_and_saveexec_b32 s1, s18
	s_cbranch_execz .LBB12_3
.LBB12_48:
	s_mov_b32 s0, exec_lo
	s_trap 2
	s_or_b32 exec_lo, exec_lo, s1
	s_and_saveexec_b32 s1, s15
	s_cbranch_execz .LBB12_4
.LBB12_49:
	s_or_b32 s0, s0, exec_lo
	s_trap 2
	s_or_b32 exec_lo, exec_lo, s1
	s_and_saveexec_b32 s1, s0
	s_cbranch_execz .LBB12_5
.LBB12_50:
	; divergent unreachable
	s_endpgm
	.section	.rodata,"a",@progbits
	.p2align	6, 0x0
	.amdhsa_kernel _ZN2at6native12_GLOBAL__N_125nll_loss2d_forward_kernelIN3c104HalfEflEEvPT_S6_PKS5_PKlS8_iiil
		.amdhsa_group_segment_fixed_size 8192
		.amdhsa_private_segment_fixed_size 0
		.amdhsa_kernarg_size 320
		.amdhsa_user_sgpr_count 2
		.amdhsa_user_sgpr_dispatch_ptr 0
		.amdhsa_user_sgpr_queue_ptr 0
		.amdhsa_user_sgpr_kernarg_segment_ptr 1
		.amdhsa_user_sgpr_dispatch_id 0
		.amdhsa_user_sgpr_kernarg_preload_length 0
		.amdhsa_user_sgpr_kernarg_preload_offset 0
		.amdhsa_user_sgpr_private_segment_size 0
		.amdhsa_wavefront_size32 1
		.amdhsa_uses_dynamic_stack 0
		.amdhsa_enable_private_segment 0
		.amdhsa_system_sgpr_workgroup_id_x 1
		.amdhsa_system_sgpr_workgroup_id_y 0
		.amdhsa_system_sgpr_workgroup_id_z 0
		.amdhsa_system_sgpr_workgroup_info 0
		.amdhsa_system_vgpr_workitem_id 0
		.amdhsa_next_free_vgpr 13
		.amdhsa_next_free_sgpr 30
		.amdhsa_named_barrier_count 0
		.amdhsa_reserve_vcc 1
		.amdhsa_float_round_mode_32 0
		.amdhsa_float_round_mode_16_64 0
		.amdhsa_float_denorm_mode_32 3
		.amdhsa_float_denorm_mode_16_64 3
		.amdhsa_fp16_overflow 0
		.amdhsa_memory_ordered 1
		.amdhsa_forward_progress 1
		.amdhsa_inst_pref_size 16
		.amdhsa_round_robin_scheduling 0
		.amdhsa_exception_fp_ieee_invalid_op 0
		.amdhsa_exception_fp_denorm_src 0
		.amdhsa_exception_fp_ieee_div_zero 0
		.amdhsa_exception_fp_ieee_overflow 0
		.amdhsa_exception_fp_ieee_underflow 0
		.amdhsa_exception_fp_ieee_inexact 0
		.amdhsa_exception_int_div_zero 0
	.end_amdhsa_kernel
	.section	.text._ZN2at6native12_GLOBAL__N_125nll_loss2d_forward_kernelIN3c104HalfEflEEvPT_S6_PKS5_PKlS8_iiil,"axG",@progbits,_ZN2at6native12_GLOBAL__N_125nll_loss2d_forward_kernelIN3c104HalfEflEEvPT_S6_PKS5_PKlS8_iiil,comdat
.Lfunc_end12:
	.size	_ZN2at6native12_GLOBAL__N_125nll_loss2d_forward_kernelIN3c104HalfEflEEvPT_S6_PKS5_PKlS8_iiil, .Lfunc_end12-_ZN2at6native12_GLOBAL__N_125nll_loss2d_forward_kernelIN3c104HalfEflEEvPT_S6_PKS5_PKlS8_iiil
                                        ; -- End function
	.set _ZN2at6native12_GLOBAL__N_125nll_loss2d_forward_kernelIN3c104HalfEflEEvPT_S6_PKS5_PKlS8_iiil.num_vgpr, 13
	.set _ZN2at6native12_GLOBAL__N_125nll_loss2d_forward_kernelIN3c104HalfEflEEvPT_S6_PKS5_PKlS8_iiil.num_agpr, 0
	.set _ZN2at6native12_GLOBAL__N_125nll_loss2d_forward_kernelIN3c104HalfEflEEvPT_S6_PKS5_PKlS8_iiil.numbered_sgpr, 30
	.set _ZN2at6native12_GLOBAL__N_125nll_loss2d_forward_kernelIN3c104HalfEflEEvPT_S6_PKS5_PKlS8_iiil.num_named_barrier, 0
	.set _ZN2at6native12_GLOBAL__N_125nll_loss2d_forward_kernelIN3c104HalfEflEEvPT_S6_PKS5_PKlS8_iiil.private_seg_size, 0
	.set _ZN2at6native12_GLOBAL__N_125nll_loss2d_forward_kernelIN3c104HalfEflEEvPT_S6_PKS5_PKlS8_iiil.uses_vcc, 1
	.set _ZN2at6native12_GLOBAL__N_125nll_loss2d_forward_kernelIN3c104HalfEflEEvPT_S6_PKS5_PKlS8_iiil.uses_flat_scratch, 0
	.set _ZN2at6native12_GLOBAL__N_125nll_loss2d_forward_kernelIN3c104HalfEflEEvPT_S6_PKS5_PKlS8_iiil.has_dyn_sized_stack, 0
	.set _ZN2at6native12_GLOBAL__N_125nll_loss2d_forward_kernelIN3c104HalfEflEEvPT_S6_PKS5_PKlS8_iiil.has_recursion, 0
	.set _ZN2at6native12_GLOBAL__N_125nll_loss2d_forward_kernelIN3c104HalfEflEEvPT_S6_PKS5_PKlS8_iiil.has_indirect_call, 0
	.section	.AMDGPU.csdata,"",@progbits
; Kernel info:
; codeLenInByte = 2000
; TotalNumSgprs: 32
; NumVgprs: 13
; ScratchSize: 0
; MemoryBound: 0
; FloatMode: 240
; IeeeMode: 1
; LDSByteSize: 8192 bytes/workgroup (compile time only)
; SGPRBlocks: 0
; VGPRBlocks: 0
; NumSGPRsForWavesPerEU: 32
; NumVGPRsForWavesPerEU: 13
; NamedBarCnt: 0
; Occupancy: 16
; WaveLimiterHint : 1
; COMPUTE_PGM_RSRC2:SCRATCH_EN: 0
; COMPUTE_PGM_RSRC2:USER_SGPR: 2
; COMPUTE_PGM_RSRC2:TRAP_HANDLER: 0
; COMPUTE_PGM_RSRC2:TGID_X_EN: 1
; COMPUTE_PGM_RSRC2:TGID_Y_EN: 0
; COMPUTE_PGM_RSRC2:TGID_Z_EN: 0
; COMPUTE_PGM_RSRC2:TIDIG_COMP_CNT: 0
	.section	.text._ZN2at6native12_GLOBAL__N_125nll_loss2d_forward_kernelIN3c108BFloat16EfiEEvPT_S6_PKS5_PKlS8_iiil,"axG",@progbits,_ZN2at6native12_GLOBAL__N_125nll_loss2d_forward_kernelIN3c108BFloat16EfiEEvPT_S6_PKS5_PKlS8_iiil,comdat
	.globl	_ZN2at6native12_GLOBAL__N_125nll_loss2d_forward_kernelIN3c108BFloat16EfiEEvPT_S6_PKS5_PKlS8_iiil ; -- Begin function _ZN2at6native12_GLOBAL__N_125nll_loss2d_forward_kernelIN3c108BFloat16EfiEEvPT_S6_PKS5_PKlS8_iiil
	.p2align	8
	.type	_ZN2at6native12_GLOBAL__N_125nll_loss2d_forward_kernelIN3c108BFloat16EfiEEvPT_S6_PKS5_PKlS8_iiil,@function
_ZN2at6native12_GLOBAL__N_125nll_loss2d_forward_kernelIN3c108BFloat16EfiEEvPT_S6_PKS5_PKlS8_iiil: ; @_ZN2at6native12_GLOBAL__N_125nll_loss2d_forward_kernelIN3c108BFloat16EfiEEvPT_S6_PKS5_PKlS8_iiil
; %bb.0:
	s_clause 0x1
	s_load_b96 s[12:14], s[0:1], 0x28
	s_load_b32 s15, s[0:1], 0x4c
	s_bfe_u32 s4, ttmp6, 0x4000c
	s_and_b32 s3, ttmp6, 15
	s_add_co_i32 s4, s4, 1
	s_getreg_b32 s5, hwreg(HW_REG_IB_STS2, 6, 4)
	s_mul_i32 s4, ttmp9, s4
	v_mov_b32_e32 v4, 0
	s_add_co_i32 s3, s3, s4
	s_mov_b32 s21, -1
	v_mov_b32_e32 v2, 0
	s_wait_kmcnt 0x0
	s_cvt_f32_u32 s2, s14
	s_sub_co_i32 s6, 0, s14
	s_delay_alu instid0(SALU_CYCLE_2) | instskip(SKIP_1) | instid1(TRANS32_DEP_1)
	v_rcp_iflag_f32_e32 v1, s2
	v_nop
	v_readfirstlane_b32 s2, v1
	s_mul_f32 s2, s2, 0x4f7ffffe
	s_delay_alu instid0(SALU_CYCLE_3) | instskip(NEXT) | instid1(SALU_CYCLE_3)
	s_cvt_u32_f32 s2, s2
	s_mul_i32 s6, s6, s2
	s_delay_alu instid0(SALU_CYCLE_1) | instskip(NEXT) | instid1(SALU_CYCLE_1)
	s_mul_hi_u32 s6, s2, s6
	s_add_co_i32 s2, s2, s6
	s_cmp_eq_u32 s5, 0
	s_cselect_b32 s16, ttmp9, s3
	s_delay_alu instid0(SALU_CYCLE_1) | instskip(NEXT) | instid1(SALU_CYCLE_1)
	s_mul_hi_u32 s4, s16, s2
	s_mul_i32 s2, s4, s14
	s_add_co_i32 s6, s4, 1
	s_sub_co_i32 s5, s16, s2
	s_load_b64 s[2:3], s[0:1], 0x20
	s_sub_co_i32 s7, s5, s14
	s_cmp_ge_u32 s5, s14
	s_cselect_b32 s17, s6, s4
	s_cselect_b32 s4, s7, s5
	s_add_co_i32 s18, s17, 1
	s_cmp_ge_u32 s4, s14
	s_load_b256 s[4:11], s[0:1], 0x0
	s_cselect_b32 s17, s18, s17
	s_and_b32 s18, s15, 0xffff
	s_mul_i32 s19, s17, s14
	s_mov_b32 s15, 0
	s_sub_co_i32 s20, s16, s19
	s_mov_b32 s16, 0
	s_mul_i32 s20, s20, s18
	s_mov_b32 s19, exec_lo
	v_add_nc_u32_e32 v1, s20, v0
	s_delay_alu instid0(VALU_DEP_1)
	v_cmpx_gt_i32_e64 s13, v1
	s_cbranch_execnz .LBB13_6
; %bb.1:
	s_or_b32 exec_lo, exec_lo, s19
	s_wait_xcnt 0x0
	s_and_saveexec_b32 s0, s21
	s_wait_kmcnt 0x0
	s_xor_b32 s8, exec_lo, s0
	s_cbranch_execnz .LBB13_22
.LBB13_2:
	s_or_b32 exec_lo, exec_lo, s8
	s_mov_b32 s0, 0
	s_and_saveexec_b32 s1, s16
	s_cbranch_execnz .LBB13_40
.LBB13_3:
	s_or_b32 exec_lo, exec_lo, s1
	s_and_saveexec_b32 s1, s15
	s_cbranch_execnz .LBB13_41
.LBB13_4:
	s_or_b32 exec_lo, exec_lo, s1
	s_and_saveexec_b32 s1, s0
	s_cbranch_execnz .LBB13_42
.LBB13_5:
	s_endpgm
.LBB13_6:
	s_mul_i32 s21, s17, s13
	s_load_b64 s[16:17], s[0:1], 0x38
	v_add3_u32 v2, s20, s21, v0
	s_wait_kmcnt 0x0
	s_cmp_lg_u64 s[2:3], 0
	s_mul_i32 s14, s14, s18
	v_mov_b32_e32 v7, 0
	s_cselect_b32 s20, -1, 0
	v_dual_mov_b32 v6, 0 :: v_dual_ashrrev_i32 v3, 31, v2
	s_ashr_i32 s15, s14, 31
	s_mul_i32 s21, s21, s12
	s_mov_b32 s22, 0
	s_delay_alu instid0(VALU_DEP_1)
	v_lshl_add_u64 v[2:3], v[2:3], 3, s[10:11]
	s_lshl_b64 s[10:11], s[14:15], 3
                                        ; implicit-def: $sgpr15
                                        ; implicit-def: $sgpr1
	s_branch .LBB13_8
.LBB13_7:                               ;   in Loop: Header=BB13_8 Depth=1
	s_or_b32 exec_lo, exec_lo, s26
	s_xor_b32 s0, s0, -1
	s_xor_b32 s24, s24, -1
	s_and_b32 s23, exec_lo, s23
	s_delay_alu instid0(SALU_CYCLE_1)
	s_or_b32 s22, s23, s22
	s_and_not1_b32 s1, s1, exec_lo
	s_and_b32 s0, s0, exec_lo
	s_and_not1_b32 s15, s15, exec_lo
	s_and_b32 s23, s24, exec_lo
	s_or_b32 s1, s1, s0
	s_or_b32 s15, s15, s23
	s_and_not1_b32 exec_lo, exec_lo, s22
	s_cbranch_execz .LBB13_19
.LBB13_8:                               ; =>This Inner Loop Header: Depth=1
	global_load_b64 v[4:5], v[2:3], off
	s_mov_b32 s25, -1
	s_mov_b32 s23, exec_lo
                                        ; implicit-def: $sgpr24
                                        ; implicit-def: $sgpr0
	s_wait_loadcnt 0x0
	v_ashrrev_i32_e32 v5, 31, v4
	s_delay_alu instid0(VALU_DEP_1)
	v_cmpx_ne_u64_e64 s[16:17], v[4:5]
	s_cbranch_execz .LBB13_17
; %bb.9:                                ;   in Loop: Header=BB13_8 Depth=1
	v_cmp_lt_i32_e32 vcc_lo, -1, v4
	v_cmp_gt_i32_e64 s0, s12, v4
	s_mov_b32 s24, -1
	s_mov_b32 s26, 0
	s_and_b32 s27, vcc_lo, s0
	s_mov_b32 s0, 0
	s_and_saveexec_b32 s25, s27
	s_cbranch_execz .LBB13_16
; %bb.10:                               ;   in Loop: Header=BB13_8 Depth=1
	s_and_not1_b32 vcc_lo, exec_lo, s20
	s_cbranch_vccnz .LBB13_12
; %bb.11:                               ;   in Loop: Header=BB13_8 Depth=1
	v_lshl_add_u64 v[8:9], v[4:5], 1, s[2:3]
	global_load_u16 v5, v[8:9], off
	s_wait_loadcnt 0x0
	v_lshlrev_b32_e32 v5, 16, v5
	s_branch .LBB13_13
.LBB13_12:                              ;   in Loop: Header=BB13_8 Depth=1
	v_mov_b32_e32 v5, 1.0
.LBB13_13:                              ;   in Loop: Header=BB13_8 Depth=1
	v_add_nc_u32_e32 v8, s21, v1
	s_mov_b32 s0, exec_lo
	s_delay_alu instid0(VALU_DEP_1) | instskip(NEXT) | instid1(VALU_DEP_1)
	v_mad_u32 v4, s13, v4, v8
	v_cmpx_lt_i32_e32 -1, v4
	s_cbranch_execz .LBB13_15
; %bb.14:                               ;   in Loop: Header=BB13_8 Depth=1
	global_load_u16 v4, v4, s[8:9] scale_offset
	s_mov_b32 s26, exec_lo
	s_wait_loadcnt 0x0
	v_dual_add_f32 v7, v7, v5 :: v_dual_lshlrev_b32 v4, 16, v4
	s_delay_alu instid0(VALU_DEP_1) | instskip(NEXT) | instid1(VALU_DEP_1)
	v_mul_f32_e32 v4, v5, v4
	v_bfe_u32 v8, v4, 16, 1
	v_cmp_o_f32_e32 vcc_lo, v4, v4
	s_delay_alu instid0(VALU_DEP_2) | instskip(NEXT) | instid1(VALU_DEP_1)
	v_add3_u32 v8, v4, v8, 0x7fff
	v_and_b32_e32 v8, 0xffff0000, v8
	s_delay_alu instid0(VALU_DEP_1) | instskip(NEXT) | instid1(VALU_DEP_1)
	v_cndmask_b32_e32 v4, 0x7fc00000, v8, vcc_lo
	v_sub_f32_e32 v6, v6, v4
.LBB13_15:                              ;   in Loop: Header=BB13_8 Depth=1
	s_or_b32 exec_lo, exec_lo, s0
	s_delay_alu instid0(SALU_CYCLE_1)
	s_mov_b32 s0, exec_lo
	s_xor_b32 s24, exec_lo, -1
	s_and_b32 s26, s26, exec_lo
.LBB13_16:                              ;   in Loop: Header=BB13_8 Depth=1
	s_or_b32 exec_lo, exec_lo, s25
	s_delay_alu instid0(SALU_CYCLE_1)
	s_or_not1_b32 s25, s26, exec_lo
.LBB13_17:                              ;   in Loop: Header=BB13_8 Depth=1
	s_or_b32 exec_lo, exec_lo, s23
	s_mov_b32 s23, -1
	s_and_saveexec_b32 s26, s25
	s_cbranch_execz .LBB13_7
; %bb.18:                               ;   in Loop: Header=BB13_8 Depth=1
	v_add_nc_u32_e32 v1, s14, v1
	v_add_nc_u64_e32 v[2:3], s[10:11], v[2:3]
	s_and_not1_b32 s0, s0, exec_lo
	s_and_not1_b32 s24, s24, exec_lo
	s_delay_alu instid0(VALU_DEP_2)
	v_cmp_le_i32_e32 vcc_lo, s13, v1
	s_or_not1_b32 s23, vcc_lo, exec_lo
	s_branch .LBB13_7
.LBB13_19:
	s_or_b32 exec_lo, exec_lo, s22
	v_dual_mov_b32 v2, 0 :: v_dual_mov_b32 v4, 0
	s_mov_b32 s2, 0
	s_mov_b32 s8, -1
	s_mov_b32 s0, 0
	s_and_saveexec_b32 s3, s15
	s_delay_alu instid0(SALU_CYCLE_1)
	s_xor_b32 s3, exec_lo, s3
; %bb.20:
	v_dual_mov_b32 v2, v6 :: v_dual_mov_b32 v4, v7
	s_mov_b32 s0, exec_lo
	s_xor_b32 s8, exec_lo, -1
	s_and_b32 s2, s1, exec_lo
; %bb.21:
	s_or_b32 exec_lo, exec_lo, s3
	s_delay_alu instid0(SALU_CYCLE_1) | instskip(SKIP_4) | instid1(SALU_CYCLE_1)
	s_and_b32 s15, s8, exec_lo
	s_and_b32 s16, s0, exec_lo
	s_or_not1_b32 s21, s2, exec_lo
	s_or_b32 exec_lo, exec_lo, s19
	s_and_saveexec_b32 s0, s21
	s_xor_b32 s8, exec_lo, s0
	s_cbranch_execz .LBB13_2
.LBB13_22:
	v_mbcnt_lo_u32_b32 v6, -1, 0
	v_and_b32_e32 v9, 31, v0
	s_barrier_signal -1
	s_barrier_wait -1
	s_delay_alu instid0(VALU_DEP_2) | instskip(SKIP_4) | instid1(VALU_DEP_2)
	v_lshl_or_b32 v1, v6, 2, 64
	v_cmp_gt_u32_e32 vcc_lo, 24, v6
	ds_bpermute_b32 v5, v1, v4
	v_cndmask_b32_e64 v3, 0, 8, vcc_lo
	v_cmp_gt_u32_e32 vcc_lo, 28, v6
	v_add_lshl_u32 v3, v3, v6, 2
	s_wait_dscnt 0x0
	v_add_f32_e32 v5, v4, v5
	v_cndmask_b32_e64 v4, 0, 4, vcc_lo
	v_cmp_gt_u32_e32 vcc_lo, 30, v6
	ds_bpermute_b32 v7, v3, v5
	v_add_lshl_u32 v4, v4, v6, 2
	s_wait_dscnt 0x0
	v_add_f32_e32 v7, v5, v7
	v_cndmask_b32_e64 v5, 0, 2, vcc_lo
	v_cmp_ne_u32_e32 vcc_lo, 31, v6
	s_delay_alu instid0(VALU_DEP_2) | instskip(SKIP_1) | instid1(VALU_DEP_1)
	v_add_lshl_u32 v5, v5, v6, 2
	v_add_co_ci_u32_e64 v6, null, 0, v6, vcc_lo
	v_lshlrev_b32_e32 v6, 2, v6
	ds_bpermute_b32 v8, v4, v7
	s_wait_dscnt 0x0
	v_add_f32_e32 v7, v7, v8
	ds_bpermute_b32 v8, v5, v7
	s_wait_dscnt 0x0
	v_add_f32_e32 v7, v7, v8
	v_lshrrev_b32_e32 v8, 3, v0
	v_cmp_eq_u32_e32 vcc_lo, 0, v9
	ds_bpermute_b32 v10, v6, v7
	s_and_saveexec_b32 s0, vcc_lo
	s_cbranch_execz .LBB13_24
; %bb.23:
	s_wait_dscnt 0x0
	v_add_f32_e32 v7, v7, v10
	ds_store_b32 v8, v7 offset:4096
.LBB13_24:
	s_or_b32 exec_lo, exec_lo, s0
	s_lshr_b32 s0, s18, 5
	v_dual_mov_b32 v7, 0 :: v_dual_lshlrev_b32 v9, 2, v9
	v_cmp_gt_u32_e64 s0, s0, v0
	s_wait_dscnt 0x0
	s_barrier_signal -1
	s_barrier_wait -1
	s_and_saveexec_b32 s1, s0
; %bb.25:
	ds_load_b32 v7, v9 offset:4096
; %bb.26:
	s_or_b32 exec_lo, exec_lo, s1
	v_cmp_gt_u32_e64 s1, 32, v0
	s_and_saveexec_b32 s2, s1
	s_cbranch_execz .LBB13_28
; %bb.27:
	s_wait_dscnt 0x0
	ds_bpermute_b32 v10, v1, v7
	s_wait_dscnt 0x0
	v_add_f32_e32 v7, v7, v10
	ds_bpermute_b32 v10, v3, v7
	s_wait_dscnt 0x0
	v_add_f32_e32 v7, v7, v10
	;; [unrolled: 3-line block ×5, first 2 shown]
.LBB13_28:
	s_or_b32 exec_lo, exec_lo, s2
	ds_bpermute_b32 v10, v1, v2
	s_wait_dscnt 0x0
	s_barrier_signal -1
	s_barrier_wait -1
	v_add_f32_e32 v2, v2, v10
	ds_bpermute_b32 v10, v3, v2
	s_wait_dscnt 0x0
	v_add_f32_e32 v2, v2, v10
	ds_bpermute_b32 v10, v4, v2
	s_wait_dscnt 0x0
	;; [unrolled: 3-line block ×3, first 2 shown]
	v_add_f32_e32 v2, v2, v10
	ds_bpermute_b32 v10, v6, v2
	s_and_saveexec_b32 s2, vcc_lo
	s_cbranch_execz .LBB13_30
; %bb.29:
	s_wait_dscnt 0x0
	v_add_f32_e32 v2, v2, v10
	ds_store_b32 v8, v2
.LBB13_30:
	s_or_b32 exec_lo, exec_lo, s2
	v_mov_b32_e32 v2, 0
	s_wait_dscnt 0x0
	s_barrier_signal -1
	s_barrier_wait -1
	s_and_saveexec_b32 s2, s0
; %bb.31:
	ds_load_b32 v2, v9
; %bb.32:
	s_or_b32 exec_lo, exec_lo, s2
	s_and_saveexec_b32 s0, s1
	s_cbranch_execz .LBB13_34
; %bb.33:
	s_wait_dscnt 0x0
	ds_bpermute_b32 v1, v1, v2
	s_wait_dscnt 0x0
	v_add_f32_e32 v1, v2, v1
	ds_bpermute_b32 v2, v3, v1
	s_wait_dscnt 0x0
	v_add_f32_e32 v1, v1, v2
	;; [unrolled: 3-line block ×5, first 2 shown]
.LBB13_34:
	s_or_b32 exec_lo, exec_lo, s0
	s_mov_b32 s9, 0
	s_mov_b32 s1, exec_lo
	v_cmpx_eq_u32_e32 0, v0
	s_cbranch_execz .LBB13_39
; %bb.35:
	s_and_b64 s[10:11], s[6:7], 2
	v_bfe_u32 v0, v7, 16, 1
	s_sub_nc_u64 s[2:3], 0, s[10:11]
	v_cmp_o_f32_e32 vcc_lo, v7, v7
	s_add_nc_u64 s[2:3], s[6:7], s[2:3]
	s_cmp_eq_u64 s[10:11], 0
	s_load_b32 s0, s[2:3], 0x0
	v_add3_u32 v0, v7, v0, 0x7fff
	v_mov_b32_e32 v4, 0
	s_delay_alu instid0(VALU_DEP_2) | instskip(NEXT) | instid1(VALU_DEP_1)
	v_and_b32_e32 v0, 0xffff0000, v0
	v_cndmask_b32_e32 v3, 0x7fc00000, v0, vcc_lo
	s_cselect_b32 vcc_lo, -1, 0
	s_wait_kmcnt 0x0
	v_mov_b32_e32 v1, s0
.LBB13_36:                              ; =>This Inner Loop Header: Depth=1
	s_delay_alu instid0(VALU_DEP_1) | instskip(SKIP_1) | instid1(VALU_DEP_1)
	v_lshrrev_b32_e32 v0, 16, v1
	v_and_b32_e32 v5, 0xffff, v1
	v_cndmask_b32_e32 v0, v0, v5, vcc_lo
	s_delay_alu instid0(VALU_DEP_1) | instskip(NEXT) | instid1(VALU_DEP_1)
	v_lshlrev_b32_e32 v0, 16, v0
	v_add_f32_e32 v0, v3, v0
	s_delay_alu instid0(VALU_DEP_1) | instskip(SKIP_1) | instid1(VALU_DEP_2)
	v_bfe_u32 v6, v0, 16, 1
	v_cmp_o_f32_e64 s0, v0, v0
	v_add3_u32 v6, v0, v6, 0x7fff
	s_delay_alu instid0(VALU_DEP_1) | instskip(NEXT) | instid1(VALU_DEP_1)
	v_lshrrev_b32_e32 v6, 16, v6
	v_cndmask_b32_e64 v0, 0x7fc0, v6, s0
	s_delay_alu instid0(VALU_DEP_1) | instskip(SKIP_1) | instid1(VALU_DEP_1)
	v_lshl_or_b32 v5, v0, 16, v5
	v_and_or_b32 v0, 0xffff0000, v1, v0
	v_cndmask_b32_e32 v0, v5, v0, vcc_lo
	global_atomic_cmpswap_b32 v0, v4, v[0:1], s[2:3] th:TH_ATOMIC_RETURN scope:SCOPE_DEV
	s_wait_loadcnt 0x0
	v_cmp_eq_u32_e64 s0, v1, v0
	v_mov_b32_e32 v1, v0
	s_or_b32 s9, s0, s9
	s_delay_alu instid0(SALU_CYCLE_1)
	s_and_not1_b32 exec_lo, exec_lo, s9
	s_cbranch_execnz .LBB13_36
; %bb.37:
	s_or_b32 exec_lo, exec_lo, s9
	s_wait_dscnt 0x0
	v_bfe_u32 v0, v2, 16, 1
	s_and_b64 s[6:7], s[4:5], 2
	v_cmp_o_f32_e32 vcc_lo, v2, v2
	s_sub_nc_u64 s[2:3], 0, s[6:7]
	s_cmp_eq_u64 s[6:7], 0
	v_add3_u32 v0, v2, v0, 0x7fff
	s_add_nc_u64 s[2:3], s[4:5], s[2:3]
	s_mov_b32 s4, 0
	s_delay_alu instid0(VALU_DEP_1) | instskip(NEXT) | instid1(VALU_DEP_1)
	v_and_b32_e32 v0, 0xffff0000, v0
	v_dual_mov_b32 v3, 0 :: v_dual_cndmask_b32 v2, 0x7fc00000, v0
	global_load_b32 v1, v3, s[2:3]
	s_cselect_b32 vcc_lo, -1, 0
.LBB13_38:                              ; =>This Inner Loop Header: Depth=1
	s_wait_loadcnt 0x0
	v_lshrrev_b32_e32 v0, 16, v1
	v_and_b32_e32 v4, 0xffff, v1
	s_delay_alu instid0(VALU_DEP_1) | instskip(NEXT) | instid1(VALU_DEP_1)
	v_cndmask_b32_e32 v0, v0, v4, vcc_lo
	v_lshlrev_b32_e32 v0, 16, v0
	s_delay_alu instid0(VALU_DEP_1) | instskip(NEXT) | instid1(VALU_DEP_1)
	v_add_f32_e32 v0, v2, v0
	v_bfe_u32 v5, v0, 16, 1
	v_cmp_o_f32_e64 s0, v0, v0
	s_delay_alu instid0(VALU_DEP_2) | instskip(NEXT) | instid1(VALU_DEP_1)
	v_add3_u32 v5, v0, v5, 0x7fff
	v_lshrrev_b32_e32 v5, 16, v5
	s_delay_alu instid0(VALU_DEP_1) | instskip(NEXT) | instid1(VALU_DEP_1)
	v_cndmask_b32_e64 v0, 0x7fc0, v5, s0
	v_lshl_or_b32 v4, v0, 16, v4
	v_and_or_b32 v0, 0xffff0000, v1, v0
	s_delay_alu instid0(VALU_DEP_1)
	v_cndmask_b32_e32 v0, v4, v0, vcc_lo
	global_atomic_cmpswap_b32 v0, v3, v[0:1], s[2:3] th:TH_ATOMIC_RETURN scope:SCOPE_DEV
	s_wait_loadcnt 0x0
	v_cmp_eq_u32_e64 s0, v1, v0
	v_mov_b32_e32 v1, v0
	s_or_b32 s4, s0, s4
	s_delay_alu instid0(SALU_CYCLE_1)
	s_and_not1_b32 exec_lo, exec_lo, s4
	s_cbranch_execnz .LBB13_38
.LBB13_39:
	s_or_b32 exec_lo, exec_lo, s1
	s_delay_alu instid0(SALU_CYCLE_1)
	s_and_not1_b32 s16, s16, exec_lo
	s_or_b32 exec_lo, exec_lo, s8
	s_mov_b32 s0, 0
	s_and_saveexec_b32 s1, s16
	s_cbranch_execz .LBB13_3
.LBB13_40:
	s_mov_b32 s0, exec_lo
	s_trap 2
	s_or_b32 exec_lo, exec_lo, s1
	s_and_saveexec_b32 s1, s15
	s_cbranch_execz .LBB13_4
.LBB13_41:
	s_or_b32 s0, s0, exec_lo
	s_trap 2
	s_or_b32 exec_lo, exec_lo, s1
	s_and_saveexec_b32 s1, s0
	s_cbranch_execz .LBB13_5
.LBB13_42:
	; divergent unreachable
	s_endpgm
	.section	.rodata,"a",@progbits
	.p2align	6, 0x0
	.amdhsa_kernel _ZN2at6native12_GLOBAL__N_125nll_loss2d_forward_kernelIN3c108BFloat16EfiEEvPT_S6_PKS5_PKlS8_iiil
		.amdhsa_group_segment_fixed_size 8192
		.amdhsa_private_segment_fixed_size 0
		.amdhsa_kernarg_size 320
		.amdhsa_user_sgpr_count 2
		.amdhsa_user_sgpr_dispatch_ptr 0
		.amdhsa_user_sgpr_queue_ptr 0
		.amdhsa_user_sgpr_kernarg_segment_ptr 1
		.amdhsa_user_sgpr_dispatch_id 0
		.amdhsa_user_sgpr_kernarg_preload_length 0
		.amdhsa_user_sgpr_kernarg_preload_offset 0
		.amdhsa_user_sgpr_private_segment_size 0
		.amdhsa_wavefront_size32 1
		.amdhsa_uses_dynamic_stack 0
		.amdhsa_enable_private_segment 0
		.amdhsa_system_sgpr_workgroup_id_x 1
		.amdhsa_system_sgpr_workgroup_id_y 0
		.amdhsa_system_sgpr_workgroup_id_z 0
		.amdhsa_system_sgpr_workgroup_info 0
		.amdhsa_system_vgpr_workitem_id 0
		.amdhsa_next_free_vgpr 11
		.amdhsa_next_free_sgpr 28
		.amdhsa_named_barrier_count 0
		.amdhsa_reserve_vcc 1
		.amdhsa_float_round_mode_32 0
		.amdhsa_float_round_mode_16_64 0
		.amdhsa_float_denorm_mode_32 3
		.amdhsa_float_denorm_mode_16_64 3
		.amdhsa_fp16_overflow 0
		.amdhsa_memory_ordered 1
		.amdhsa_forward_progress 1
		.amdhsa_inst_pref_size 17
		.amdhsa_round_robin_scheduling 0
		.amdhsa_exception_fp_ieee_invalid_op 0
		.amdhsa_exception_fp_denorm_src 0
		.amdhsa_exception_fp_ieee_div_zero 0
		.amdhsa_exception_fp_ieee_overflow 0
		.amdhsa_exception_fp_ieee_underflow 0
		.amdhsa_exception_fp_ieee_inexact 0
		.amdhsa_exception_int_div_zero 0
	.end_amdhsa_kernel
	.section	.text._ZN2at6native12_GLOBAL__N_125nll_loss2d_forward_kernelIN3c108BFloat16EfiEEvPT_S6_PKS5_PKlS8_iiil,"axG",@progbits,_ZN2at6native12_GLOBAL__N_125nll_loss2d_forward_kernelIN3c108BFloat16EfiEEvPT_S6_PKS5_PKlS8_iiil,comdat
.Lfunc_end13:
	.size	_ZN2at6native12_GLOBAL__N_125nll_loss2d_forward_kernelIN3c108BFloat16EfiEEvPT_S6_PKS5_PKlS8_iiil, .Lfunc_end13-_ZN2at6native12_GLOBAL__N_125nll_loss2d_forward_kernelIN3c108BFloat16EfiEEvPT_S6_PKS5_PKlS8_iiil
                                        ; -- End function
	.set _ZN2at6native12_GLOBAL__N_125nll_loss2d_forward_kernelIN3c108BFloat16EfiEEvPT_S6_PKS5_PKlS8_iiil.num_vgpr, 11
	.set _ZN2at6native12_GLOBAL__N_125nll_loss2d_forward_kernelIN3c108BFloat16EfiEEvPT_S6_PKS5_PKlS8_iiil.num_agpr, 0
	.set _ZN2at6native12_GLOBAL__N_125nll_loss2d_forward_kernelIN3c108BFloat16EfiEEvPT_S6_PKS5_PKlS8_iiil.numbered_sgpr, 28
	.set _ZN2at6native12_GLOBAL__N_125nll_loss2d_forward_kernelIN3c108BFloat16EfiEEvPT_S6_PKS5_PKlS8_iiil.num_named_barrier, 0
	.set _ZN2at6native12_GLOBAL__N_125nll_loss2d_forward_kernelIN3c108BFloat16EfiEEvPT_S6_PKS5_PKlS8_iiil.private_seg_size, 0
	.set _ZN2at6native12_GLOBAL__N_125nll_loss2d_forward_kernelIN3c108BFloat16EfiEEvPT_S6_PKS5_PKlS8_iiil.uses_vcc, 1
	.set _ZN2at6native12_GLOBAL__N_125nll_loss2d_forward_kernelIN3c108BFloat16EfiEEvPT_S6_PKS5_PKlS8_iiil.uses_flat_scratch, 0
	.set _ZN2at6native12_GLOBAL__N_125nll_loss2d_forward_kernelIN3c108BFloat16EfiEEvPT_S6_PKS5_PKlS8_iiil.has_dyn_sized_stack, 0
	.set _ZN2at6native12_GLOBAL__N_125nll_loss2d_forward_kernelIN3c108BFloat16EfiEEvPT_S6_PKS5_PKlS8_iiil.has_recursion, 0
	.set _ZN2at6native12_GLOBAL__N_125nll_loss2d_forward_kernelIN3c108BFloat16EfiEEvPT_S6_PKS5_PKlS8_iiil.has_indirect_call, 0
	.section	.AMDGPU.csdata,"",@progbits
; Kernel info:
; codeLenInByte = 2060
; TotalNumSgprs: 30
; NumVgprs: 11
; ScratchSize: 0
; MemoryBound: 0
; FloatMode: 240
; IeeeMode: 1
; LDSByteSize: 8192 bytes/workgroup (compile time only)
; SGPRBlocks: 0
; VGPRBlocks: 0
; NumSGPRsForWavesPerEU: 30
; NumVGPRsForWavesPerEU: 11
; NamedBarCnt: 0
; Occupancy: 16
; WaveLimiterHint : 1
; COMPUTE_PGM_RSRC2:SCRATCH_EN: 0
; COMPUTE_PGM_RSRC2:USER_SGPR: 2
; COMPUTE_PGM_RSRC2:TRAP_HANDLER: 0
; COMPUTE_PGM_RSRC2:TGID_X_EN: 1
; COMPUTE_PGM_RSRC2:TGID_Y_EN: 0
; COMPUTE_PGM_RSRC2:TGID_Z_EN: 0
; COMPUTE_PGM_RSRC2:TIDIG_COMP_CNT: 0
	.section	.text._ZN2at6native12_GLOBAL__N_138nll_loss2d_forward_size_average_kernelIN3c108BFloat16EEEvPT_PKS5_,"axG",@progbits,_ZN2at6native12_GLOBAL__N_138nll_loss2d_forward_size_average_kernelIN3c108BFloat16EEEvPT_PKS5_,comdat
	.globl	_ZN2at6native12_GLOBAL__N_138nll_loss2d_forward_size_average_kernelIN3c108BFloat16EEEvPT_PKS5_ ; -- Begin function _ZN2at6native12_GLOBAL__N_138nll_loss2d_forward_size_average_kernelIN3c108BFloat16EEEvPT_PKS5_
	.p2align	8
	.type	_ZN2at6native12_GLOBAL__N_138nll_loss2d_forward_size_average_kernelIN3c108BFloat16EEEvPT_PKS5_,@function
_ZN2at6native12_GLOBAL__N_138nll_loss2d_forward_size_average_kernelIN3c108BFloat16EEEvPT_PKS5_: ; @_ZN2at6native12_GLOBAL__N_138nll_loss2d_forward_size_average_kernelIN3c108BFloat16EEEvPT_PKS5_
; %bb.0:
	s_load_b128 s[0:3], s[0:1], 0x0
	s_wait_kmcnt 0x0
	s_load_u16 s4, s[0:1], 0x0
	s_load_u16 s5, s[2:3], 0x0
	s_wait_kmcnt 0x0
	s_lshl_b32 s2, s4, 16
	s_lshl_b32 s3, s5, 16
	s_delay_alu instid0(SALU_CYCLE_1) | instskip(NEXT) | instid1(VALU_DEP_1)
	v_div_scale_f32 v0, null, s3, s3, s2
	v_rcp_f32_e32 v1, v0
	v_nop
	v_xor_b32_e32 v0, 0x80000000, v0
	s_delay_alu instid0(TRANS32_DEP_1) | instid1(VALU_DEP_1)
	v_fma_f32 v2, v0, v1, 1.0
	s_delay_alu instid0(VALU_DEP_1) | instskip(SKIP_1) | instid1(VALU_DEP_1)
	v_fmac_f32_e32 v1, v2, v1
	v_div_scale_f32 v2, vcc_lo, s2, s3, s2
	v_mul_f32_e32 v3, v2, v1
	s_delay_alu instid0(VALU_DEP_1) | instskip(NEXT) | instid1(VALU_DEP_1)
	v_fma_f32 v4, v0, v3, v2
	v_fmac_f32_e32 v3, v4, v1
	s_delay_alu instid0(VALU_DEP_1) | instskip(NEXT) | instid1(VALU_DEP_1)
	v_fmac_f32_e32 v2, v0, v3
	v_div_fmas_f32 v0, v2, v1, v3
	v_mov_b32_e32 v2, 0
	s_delay_alu instid0(VALU_DEP_2) | instskip(NEXT) | instid1(VALU_DEP_1)
	v_div_fixup_f32 v0, v0, s3, s2
	v_bfe_u32 v1, v0, 16, 1
	v_cmp_o_f32_e32 vcc_lo, v0, v0
	s_delay_alu instid0(VALU_DEP_2) | instskip(NEXT) | instid1(VALU_DEP_1)
	v_add_nc_u32_e32 v1, v0, v1
	v_add_nc_u32_e32 v1, 0x7fff, v1
	s_delay_alu instid0(VALU_DEP_1) | instskip(NEXT) | instid1(VALU_DEP_1)
	v_lshrrev_b32_e32 v1, 16, v1
	v_cndmask_b32_e32 v0, 0x7fc0, v1, vcc_lo
	global_store_b16 v2, v0, s[0:1]
	s_endpgm
	.section	.rodata,"a",@progbits
	.p2align	6, 0x0
	.amdhsa_kernel _ZN2at6native12_GLOBAL__N_138nll_loss2d_forward_size_average_kernelIN3c108BFloat16EEEvPT_PKS5_
		.amdhsa_group_segment_fixed_size 0
		.amdhsa_private_segment_fixed_size 0
		.amdhsa_kernarg_size 16
		.amdhsa_user_sgpr_count 2
		.amdhsa_user_sgpr_dispatch_ptr 0
		.amdhsa_user_sgpr_queue_ptr 0
		.amdhsa_user_sgpr_kernarg_segment_ptr 1
		.amdhsa_user_sgpr_dispatch_id 0
		.amdhsa_user_sgpr_kernarg_preload_length 0
		.amdhsa_user_sgpr_kernarg_preload_offset 0
		.amdhsa_user_sgpr_private_segment_size 0
		.amdhsa_wavefront_size32 1
		.amdhsa_uses_dynamic_stack 0
		.amdhsa_enable_private_segment 0
		.amdhsa_system_sgpr_workgroup_id_x 1
		.amdhsa_system_sgpr_workgroup_id_y 0
		.amdhsa_system_sgpr_workgroup_id_z 0
		.amdhsa_system_sgpr_workgroup_info 0
		.amdhsa_system_vgpr_workitem_id 0
		.amdhsa_next_free_vgpr 5
		.amdhsa_next_free_sgpr 6
		.amdhsa_named_barrier_count 0
		.amdhsa_reserve_vcc 1
		.amdhsa_float_round_mode_32 0
		.amdhsa_float_round_mode_16_64 0
		.amdhsa_float_denorm_mode_32 3
		.amdhsa_float_denorm_mode_16_64 3
		.amdhsa_fp16_overflow 0
		.amdhsa_memory_ordered 1
		.amdhsa_forward_progress 1
		.amdhsa_inst_pref_size 2
		.amdhsa_round_robin_scheduling 0
		.amdhsa_exception_fp_ieee_invalid_op 0
		.amdhsa_exception_fp_denorm_src 0
		.amdhsa_exception_fp_ieee_div_zero 0
		.amdhsa_exception_fp_ieee_overflow 0
		.amdhsa_exception_fp_ieee_underflow 0
		.amdhsa_exception_fp_ieee_inexact 0
		.amdhsa_exception_int_div_zero 0
	.end_amdhsa_kernel
	.section	.text._ZN2at6native12_GLOBAL__N_138nll_loss2d_forward_size_average_kernelIN3c108BFloat16EEEvPT_PKS5_,"axG",@progbits,_ZN2at6native12_GLOBAL__N_138nll_loss2d_forward_size_average_kernelIN3c108BFloat16EEEvPT_PKS5_,comdat
.Lfunc_end14:
	.size	_ZN2at6native12_GLOBAL__N_138nll_loss2d_forward_size_average_kernelIN3c108BFloat16EEEvPT_PKS5_, .Lfunc_end14-_ZN2at6native12_GLOBAL__N_138nll_loss2d_forward_size_average_kernelIN3c108BFloat16EEEvPT_PKS5_
                                        ; -- End function
	.set _ZN2at6native12_GLOBAL__N_138nll_loss2d_forward_size_average_kernelIN3c108BFloat16EEEvPT_PKS5_.num_vgpr, 5
	.set _ZN2at6native12_GLOBAL__N_138nll_loss2d_forward_size_average_kernelIN3c108BFloat16EEEvPT_PKS5_.num_agpr, 0
	.set _ZN2at6native12_GLOBAL__N_138nll_loss2d_forward_size_average_kernelIN3c108BFloat16EEEvPT_PKS5_.numbered_sgpr, 6
	.set _ZN2at6native12_GLOBAL__N_138nll_loss2d_forward_size_average_kernelIN3c108BFloat16EEEvPT_PKS5_.num_named_barrier, 0
	.set _ZN2at6native12_GLOBAL__N_138nll_loss2d_forward_size_average_kernelIN3c108BFloat16EEEvPT_PKS5_.private_seg_size, 0
	.set _ZN2at6native12_GLOBAL__N_138nll_loss2d_forward_size_average_kernelIN3c108BFloat16EEEvPT_PKS5_.uses_vcc, 1
	.set _ZN2at6native12_GLOBAL__N_138nll_loss2d_forward_size_average_kernelIN3c108BFloat16EEEvPT_PKS5_.uses_flat_scratch, 0
	.set _ZN2at6native12_GLOBAL__N_138nll_loss2d_forward_size_average_kernelIN3c108BFloat16EEEvPT_PKS5_.has_dyn_sized_stack, 0
	.set _ZN2at6native12_GLOBAL__N_138nll_loss2d_forward_size_average_kernelIN3c108BFloat16EEEvPT_PKS5_.has_recursion, 0
	.set _ZN2at6native12_GLOBAL__N_138nll_loss2d_forward_size_average_kernelIN3c108BFloat16EEEvPT_PKS5_.has_indirect_call, 0
	.section	.AMDGPU.csdata,"",@progbits
; Kernel info:
; codeLenInByte = 208
; TotalNumSgprs: 8
; NumVgprs: 5
; ScratchSize: 0
; MemoryBound: 0
; FloatMode: 240
; IeeeMode: 1
; LDSByteSize: 0 bytes/workgroup (compile time only)
; SGPRBlocks: 0
; VGPRBlocks: 0
; NumSGPRsForWavesPerEU: 8
; NumVGPRsForWavesPerEU: 5
; NamedBarCnt: 0
; Occupancy: 16
; WaveLimiterHint : 0
; COMPUTE_PGM_RSRC2:SCRATCH_EN: 0
; COMPUTE_PGM_RSRC2:USER_SGPR: 2
; COMPUTE_PGM_RSRC2:TRAP_HANDLER: 0
; COMPUTE_PGM_RSRC2:TGID_X_EN: 1
; COMPUTE_PGM_RSRC2:TGID_Y_EN: 0
; COMPUTE_PGM_RSRC2:TGID_Z_EN: 0
; COMPUTE_PGM_RSRC2:TIDIG_COMP_CNT: 0
	.section	.text._ZN2at6native12_GLOBAL__N_125nll_loss2d_forward_kernelIN3c108BFloat16EflEEvPT_S6_PKS5_PKlS8_iiil,"axG",@progbits,_ZN2at6native12_GLOBAL__N_125nll_loss2d_forward_kernelIN3c108BFloat16EflEEvPT_S6_PKS5_PKlS8_iiil,comdat
	.globl	_ZN2at6native12_GLOBAL__N_125nll_loss2d_forward_kernelIN3c108BFloat16EflEEvPT_S6_PKS5_PKlS8_iiil ; -- Begin function _ZN2at6native12_GLOBAL__N_125nll_loss2d_forward_kernelIN3c108BFloat16EflEEvPT_S6_PKS5_PKlS8_iiil
	.p2align	8
	.type	_ZN2at6native12_GLOBAL__N_125nll_loss2d_forward_kernelIN3c108BFloat16EflEEvPT_S6_PKS5_PKlS8_iiil,@function
_ZN2at6native12_GLOBAL__N_125nll_loss2d_forward_kernelIN3c108BFloat16EflEEvPT_S6_PKS5_PKlS8_iiil: ; @_ZN2at6native12_GLOBAL__N_125nll_loss2d_forward_kernelIN3c108BFloat16EflEEvPT_S6_PKS5_PKlS8_iiil
; %bb.0:
	s_clause 0x1
	s_load_b96 s[12:14], s[0:1], 0x28
	s_load_b32 s3, s[0:1], 0x4c
	s_bfe_u32 s5, ttmp6, 0x4000c
	s_and_b32 s4, ttmp6, 15
	s_add_co_i32 s5, s5, 1
	s_getreg_b32 s6, hwreg(HW_REG_IB_STS2, 6, 4)
	s_mul_i32 s5, ttmp9, s5
	s_load_b64 s[16:17], s[0:1], 0x20
	s_add_co_i32 s4, s4, s5
	v_dual_mov_b32 v4, 0 :: v_dual_mov_b32 v5, 0
	s_mov_b32 s23, exec_lo
	s_wait_kmcnt 0x0
	s_cvt_f32_u32 s2, s14
	s_sub_co_i32 s7, 0, s14
	s_delay_alu instid0(SALU_CYCLE_2) | instskip(SKIP_1) | instid1(TRANS32_DEP_1)
	v_rcp_iflag_f32_e32 v1, s2
	v_nop
	v_readfirstlane_b32 s2, v1
	s_mul_f32 s2, s2, 0x4f7ffffe
	s_delay_alu instid0(SALU_CYCLE_3) | instskip(NEXT) | instid1(SALU_CYCLE_3)
	s_cvt_u32_f32 s2, s2
	s_mul_i32 s7, s7, s2
	s_delay_alu instid0(SALU_CYCLE_1) | instskip(NEXT) | instid1(SALU_CYCLE_1)
	s_mul_hi_u32 s7, s2, s7
	s_add_co_i32 s2, s2, s7
	s_cmp_eq_u32 s6, 0
	s_cselect_b32 s15, ttmp9, s4
	s_delay_alu instid0(SALU_CYCLE_1) | instskip(NEXT) | instid1(SALU_CYCLE_1)
	s_mul_hi_u32 s2, s15, s2
	s_mul_i32 s4, s2, s14
	s_add_co_i32 s5, s2, 1
	s_sub_co_i32 s4, s15, s4
	s_delay_alu instid0(SALU_CYCLE_1)
	s_sub_co_i32 s6, s4, s14
	s_cmp_ge_u32 s4, s14
	s_cselect_b32 s2, s5, s2
	s_cselect_b32 s4, s6, s4
	s_add_co_i32 s5, s2, 1
	s_cmp_ge_u32 s4, s14
	s_cselect_b32 s2, s5, s2
	s_load_b256 s[4:11], s[0:1], 0x0
	s_mul_i32 s18, s2, s14
	s_and_b32 s22, s3, 0xffff
	s_sub_co_i32 s3, s15, s18
	s_mov_b32 s18, 0
	v_mad_u32 v2, s3, s22, v0
	s_mov_b32 s3, -1
	s_mov_b32 s15, 0
	s_delay_alu instid0(VALU_DEP_1)
	v_cmpx_gt_i32_e64 s13, v2
	s_cbranch_execnz .LBB15_6
; %bb.1:
	s_or_b32 exec_lo, exec_lo, s23
	s_wait_xcnt 0x0
	s_and_saveexec_b32 s0, s3
	s_wait_kmcnt 0x0
	s_xor_b32 s8, exec_lo, s0
	s_cbranch_execnz .LBB15_22
.LBB15_2:
	s_or_b32 exec_lo, exec_lo, s8
	s_mov_b32 s0, 0
	s_and_saveexec_b32 s1, s18
	s_cbranch_execnz .LBB15_40
.LBB15_3:
	s_or_b32 exec_lo, exec_lo, s1
	s_and_saveexec_b32 s1, s15
	s_cbranch_execnz .LBB15_41
.LBB15_4:
	s_or_b32 exec_lo, exec_lo, s1
	s_and_saveexec_b32 s1, s0
	s_cbranch_execnz .LBB15_42
.LBB15_5:
	s_endpgm
.LBB15_6:
	v_dual_ashrrev_i32 v3, 31, v2 :: v_dual_mov_b32 v1, 0
	s_mov_b32 s3, 0
	s_ashr_i32 s19, s13, 31
	s_mov_b32 s18, s13
	s_load_b64 s[20:21], s[0:1], 0x38
	s_mul_u64 s[24:25], s[2:3], s[18:19]
	s_ashr_i32 s13, s12, 31
	v_mad_nc_u64_u32 v[4:5], s24, s12, v[2:3]
	s_cmp_lg_u64 s[16:17], 0
	s_mul_i32 s15, s25, s12
	s_cselect_b32 s2, -1, 0
	s_wait_xcnt 0x0
	s_lshl_b64 s[0:1], s[24:25], 3
	s_mul_i32 s14, s14, s22
	s_wait_kmcnt 0x0
	s_add_nc_u64 s[0:1], s[10:11], s[0:1]
	s_mul_i32 s10, s24, s13
	v_lshl_add_u64 v[6:7], v[2:3], 3, s[0:1]
	v_mov_b32_e32 v3, 0
                                        ; implicit-def: $sgpr24
                                        ; implicit-def: $sgpr1
	v_add3_u32 v5, s10, s15, v5
	s_ashr_i32 s15, s14, 31
	s_delay_alu instid0(SALU_CYCLE_1)
	s_lshl_b64 s[10:11], s[14:15], 3
	s_branch .LBB15_8
.LBB15_7:                               ;   in Loop: Header=BB15_8 Depth=1
	s_or_b32 exec_lo, exec_lo, s28
	s_xor_b32 s0, s0, -1
	s_xor_b32 s26, s26, -1
	s_and_b32 s25, exec_lo, s25
	s_delay_alu instid0(SALU_CYCLE_1)
	s_or_b32 s3, s25, s3
	s_and_not1_b32 s1, s1, exec_lo
	s_and_b32 s0, s0, exec_lo
	s_and_not1_b32 s24, s24, exec_lo
	s_and_b32 s25, s26, exec_lo
	s_or_b32 s1, s1, s0
	s_or_b32 s24, s24, s25
	s_and_not1_b32 exec_lo, exec_lo, s3
	s_cbranch_execz .LBB15_19
.LBB15_8:                               ; =>This Inner Loop Header: Depth=1
	global_load_b64 v[8:9], v[6:7], off
	s_mov_b32 s27, -1
	s_mov_b32 s25, exec_lo
                                        ; implicit-def: $sgpr26
                                        ; implicit-def: $sgpr0
	s_wait_loadcnt 0x0
	v_cmpx_ne_u64_e64 s[20:21], v[8:9]
	s_cbranch_execz .LBB15_17
; %bb.9:                                ;   in Loop: Header=BB15_8 Depth=1
	v_cmp_lt_i64_e32 vcc_lo, -1, v[8:9]
	v_cmp_gt_i64_e64 s0, s[12:13], v[8:9]
	s_mov_b32 s26, -1
	s_mov_b32 s28, 0
	s_and_b32 s29, vcc_lo, s0
	s_mov_b32 s0, 0
	s_and_saveexec_b32 s27, s29
	s_cbranch_execz .LBB15_16
; %bb.10:                               ;   in Loop: Header=BB15_8 Depth=1
	s_and_not1_b32 vcc_lo, exec_lo, s2
	s_cbranch_vccnz .LBB15_12
; %bb.11:                               ;   in Loop: Header=BB15_8 Depth=1
	v_lshl_add_u64 v[10:11], v[8:9], 1, s[16:17]
	global_load_u16 v10, v[10:11], off
	s_wait_loadcnt 0x0
	v_lshlrev_b32_e32 v12, 16, v10
	s_branch .LBB15_13
.LBB15_12:                              ;   in Loop: Header=BB15_8 Depth=1
	v_mov_b32_e32 v12, 1.0
.LBB15_13:                              ;   in Loop: Header=BB15_8 Depth=1
	v_mad_nc_u64_u32 v[10:11], v8, s18, v[4:5]
	s_mov_b32 s0, exec_lo
	s_delay_alu instid0(VALU_DEP_1) | instskip(NEXT) | instid1(VALU_DEP_1)
	v_mad_u32 v9, v9, s18, v11
	v_mad_u32 v11, v8, s19, v9
	s_delay_alu instid0(VALU_DEP_1)
	v_cmpx_lt_i64_e32 -1, v[10:11]
	s_cbranch_execz .LBB15_15
; %bb.14:                               ;   in Loop: Header=BB15_8 Depth=1
	v_lshl_add_u64 v[8:9], v[10:11], 1, s[8:9]
	s_mov_b32 s28, exec_lo
	v_add_f32_e32 v3, v3, v12
	global_load_u16 v8, v[8:9], off
	s_wait_loadcnt 0x0
	v_lshlrev_b32_e32 v8, 16, v8
	s_delay_alu instid0(VALU_DEP_1) | instskip(NEXT) | instid1(VALU_DEP_1)
	v_mul_f32_e32 v8, v12, v8
	v_bfe_u32 v9, v8, 16, 1
	v_cmp_o_f32_e32 vcc_lo, v8, v8
	s_delay_alu instid0(VALU_DEP_2) | instskip(NEXT) | instid1(VALU_DEP_1)
	v_add3_u32 v9, v8, v9, 0x7fff
	v_and_b32_e32 v9, 0xffff0000, v9
	s_delay_alu instid0(VALU_DEP_1) | instskip(NEXT) | instid1(VALU_DEP_1)
	v_cndmask_b32_e32 v8, 0x7fc00000, v9, vcc_lo
	v_sub_f32_e32 v1, v1, v8
.LBB15_15:                              ;   in Loop: Header=BB15_8 Depth=1
	s_or_b32 exec_lo, exec_lo, s0
	s_delay_alu instid0(SALU_CYCLE_1)
	s_mov_b32 s0, exec_lo
	s_xor_b32 s26, exec_lo, -1
	s_and_b32 s28, s28, exec_lo
.LBB15_16:                              ;   in Loop: Header=BB15_8 Depth=1
	s_or_b32 exec_lo, exec_lo, s27
	s_delay_alu instid0(SALU_CYCLE_1)
	s_or_not1_b32 s27, s28, exec_lo
.LBB15_17:                              ;   in Loop: Header=BB15_8 Depth=1
	s_or_b32 exec_lo, exec_lo, s25
	s_mov_b32 s25, -1
	s_and_saveexec_b32 s28, s27
	s_cbranch_execz .LBB15_7
; %bb.18:                               ;   in Loop: Header=BB15_8 Depth=1
	v_add_nc_u32_e32 v2, s14, v2
	v_add_nc_u64_e32 v[6:7], s[10:11], v[6:7]
	v_add_nc_u64_e32 v[4:5], s[14:15], v[4:5]
	s_and_not1_b32 s0, s0, exec_lo
	s_and_not1_b32 s26, s26, exec_lo
	v_cmp_le_i32_e32 vcc_lo, s18, v2
	s_or_not1_b32 s25, vcc_lo, exec_lo
	s_branch .LBB15_7
.LBB15_19:
	s_or_b32 exec_lo, exec_lo, s3
	v_dual_mov_b32 v4, 0 :: v_dual_mov_b32 v5, 0
	s_mov_b32 s2, 0
	s_mov_b32 s8, -1
	s_mov_b32 s0, 0
	s_and_saveexec_b32 s3, s24
	s_delay_alu instid0(SALU_CYCLE_1)
	s_xor_b32 s3, exec_lo, s3
; %bb.20:
	v_dual_mov_b32 v4, v1 :: v_dual_mov_b32 v5, v3
	s_mov_b32 s0, exec_lo
	s_xor_b32 s8, exec_lo, -1
	s_and_b32 s2, s1, exec_lo
; %bb.21:
	s_or_b32 exec_lo, exec_lo, s3
	s_delay_alu instid0(SALU_CYCLE_1) | instskip(SKIP_4) | instid1(SALU_CYCLE_1)
	s_and_b32 s15, s8, exec_lo
	s_and_b32 s18, s0, exec_lo
	s_or_not1_b32 s3, s2, exec_lo
	s_or_b32 exec_lo, exec_lo, s23
	s_and_saveexec_b32 s0, s3
	s_xor_b32 s8, exec_lo, s0
	s_cbranch_execz .LBB15_2
.LBB15_22:
	v_mbcnt_lo_u32_b32 v6, -1, 0
	v_and_b32_e32 v9, 31, v0
	s_barrier_signal -1
	s_barrier_wait -1
	s_delay_alu instid0(VALU_DEP_2) | instskip(SKIP_4) | instid1(VALU_DEP_2)
	v_lshl_or_b32 v1, v6, 2, 64
	v_cmp_gt_u32_e32 vcc_lo, 24, v6
	ds_bpermute_b32 v3, v1, v5
	v_cndmask_b32_e64 v2, 0, 8, vcc_lo
	v_cmp_gt_u32_e32 vcc_lo, 28, v6
	v_add_lshl_u32 v2, v2, v6, 2
	s_wait_dscnt 0x0
	v_add_f32_e32 v5, v5, v3
	v_cndmask_b32_e64 v3, 0, 4, vcc_lo
	v_cmp_gt_u32_e32 vcc_lo, 30, v6
	ds_bpermute_b32 v7, v2, v5
	v_add_lshl_u32 v3, v3, v6, 2
	s_wait_dscnt 0x0
	v_add_f32_e32 v7, v5, v7
	v_cndmask_b32_e64 v5, 0, 2, vcc_lo
	v_cmp_ne_u32_e32 vcc_lo, 31, v6
	s_delay_alu instid0(VALU_DEP_2) | instskip(SKIP_1) | instid1(VALU_DEP_1)
	v_add_lshl_u32 v5, v5, v6, 2
	v_add_co_ci_u32_e64 v6, null, 0, v6, vcc_lo
	v_lshlrev_b32_e32 v6, 2, v6
	ds_bpermute_b32 v8, v3, v7
	s_wait_dscnt 0x0
	v_add_f32_e32 v7, v7, v8
	ds_bpermute_b32 v8, v5, v7
	s_wait_dscnt 0x0
	v_add_f32_e32 v7, v7, v8
	v_lshrrev_b32_e32 v8, 3, v0
	v_cmp_eq_u32_e32 vcc_lo, 0, v9
	ds_bpermute_b32 v10, v6, v7
	s_and_saveexec_b32 s0, vcc_lo
	s_cbranch_execz .LBB15_24
; %bb.23:
	s_wait_dscnt 0x0
	v_add_f32_e32 v7, v7, v10
	ds_store_b32 v8, v7 offset:4096
.LBB15_24:
	s_or_b32 exec_lo, exec_lo, s0
	s_lshr_b32 s0, s22, 5
	v_dual_mov_b32 v7, 0 :: v_dual_lshlrev_b32 v9, 2, v9
	v_cmp_gt_u32_e64 s0, s0, v0
	s_wait_dscnt 0x0
	s_barrier_signal -1
	s_barrier_wait -1
	s_and_saveexec_b32 s1, s0
; %bb.25:
	ds_load_b32 v7, v9 offset:4096
; %bb.26:
	s_or_b32 exec_lo, exec_lo, s1
	v_cmp_gt_u32_e64 s1, 32, v0
	s_and_saveexec_b32 s2, s1
	s_cbranch_execz .LBB15_28
; %bb.27:
	s_wait_dscnt 0x0
	ds_bpermute_b32 v10, v1, v7
	s_wait_dscnt 0x0
	v_add_f32_e32 v7, v7, v10
	ds_bpermute_b32 v10, v2, v7
	s_wait_dscnt 0x0
	v_add_f32_e32 v7, v7, v10
	;; [unrolled: 3-line block ×5, first 2 shown]
.LBB15_28:
	s_or_b32 exec_lo, exec_lo, s2
	ds_bpermute_b32 v10, v1, v4
	s_wait_dscnt 0x0
	s_barrier_signal -1
	s_barrier_wait -1
	v_add_f32_e32 v4, v4, v10
	ds_bpermute_b32 v10, v2, v4
	s_wait_dscnt 0x0
	v_add_f32_e32 v4, v4, v10
	ds_bpermute_b32 v10, v3, v4
	s_wait_dscnt 0x0
	;; [unrolled: 3-line block ×3, first 2 shown]
	v_add_f32_e32 v4, v4, v10
	ds_bpermute_b32 v10, v6, v4
	s_and_saveexec_b32 s2, vcc_lo
	s_cbranch_execz .LBB15_30
; %bb.29:
	s_wait_dscnt 0x0
	v_add_f32_e32 v4, v4, v10
	ds_store_b32 v8, v4
.LBB15_30:
	s_or_b32 exec_lo, exec_lo, s2
	v_mov_b32_e32 v4, 0
	s_wait_dscnt 0x0
	s_barrier_signal -1
	s_barrier_wait -1
	s_and_saveexec_b32 s2, s0
; %bb.31:
	ds_load_b32 v4, v9
; %bb.32:
	s_or_b32 exec_lo, exec_lo, s2
	s_and_saveexec_b32 s0, s1
	s_cbranch_execz .LBB15_34
; %bb.33:
	s_wait_dscnt 0x0
	ds_bpermute_b32 v1, v1, v4
	s_wait_dscnt 0x0
	v_add_f32_e32 v1, v4, v1
	ds_bpermute_b32 v2, v2, v1
	s_wait_dscnt 0x0
	v_add_f32_e32 v1, v1, v2
	;; [unrolled: 3-line block ×5, first 2 shown]
.LBB15_34:
	s_or_b32 exec_lo, exec_lo, s0
	s_mov_b32 s9, 0
	s_mov_b32 s1, exec_lo
	v_cmpx_eq_u32_e32 0, v0
	s_cbranch_execz .LBB15_39
; %bb.35:
	s_and_b64 s[10:11], s[6:7], 2
	v_bfe_u32 v0, v7, 16, 1
	s_sub_nc_u64 s[2:3], 0, s[10:11]
	v_cmp_o_f32_e32 vcc_lo, v7, v7
	s_add_nc_u64 s[2:3], s[6:7], s[2:3]
	s_cmp_eq_u64 s[10:11], 0
	s_load_b32 s0, s[2:3], 0x0
	v_add3_u32 v0, v7, v0, 0x7fff
	v_mov_b32_e32 v3, 0
	s_delay_alu instid0(VALU_DEP_2) | instskip(NEXT) | instid1(VALU_DEP_1)
	v_and_b32_e32 v0, 0xffff0000, v0
	v_cndmask_b32_e32 v2, 0x7fc00000, v0, vcc_lo
	s_cselect_b32 vcc_lo, -1, 0
	s_wait_kmcnt 0x0
	v_mov_b32_e32 v1, s0
.LBB15_36:                              ; =>This Inner Loop Header: Depth=1
	s_delay_alu instid0(VALU_DEP_1) | instskip(SKIP_1) | instid1(VALU_DEP_1)
	v_lshrrev_b32_e32 v0, 16, v1
	v_and_b32_e32 v5, 0xffff, v1
	v_cndmask_b32_e32 v0, v0, v5, vcc_lo
	s_delay_alu instid0(VALU_DEP_1) | instskip(NEXT) | instid1(VALU_DEP_1)
	v_lshlrev_b32_e32 v0, 16, v0
	v_add_f32_e32 v0, v2, v0
	s_delay_alu instid0(VALU_DEP_1) | instskip(SKIP_1) | instid1(VALU_DEP_2)
	v_bfe_u32 v6, v0, 16, 1
	v_cmp_o_f32_e64 s0, v0, v0
	v_add3_u32 v6, v0, v6, 0x7fff
	s_delay_alu instid0(VALU_DEP_1) | instskip(NEXT) | instid1(VALU_DEP_1)
	v_lshrrev_b32_e32 v6, 16, v6
	v_cndmask_b32_e64 v0, 0x7fc0, v6, s0
	s_delay_alu instid0(VALU_DEP_1) | instskip(SKIP_1) | instid1(VALU_DEP_1)
	v_lshl_or_b32 v5, v0, 16, v5
	v_and_or_b32 v0, 0xffff0000, v1, v0
	v_cndmask_b32_e32 v0, v5, v0, vcc_lo
	global_atomic_cmpswap_b32 v0, v3, v[0:1], s[2:3] th:TH_ATOMIC_RETURN scope:SCOPE_DEV
	s_wait_loadcnt 0x0
	v_cmp_eq_u32_e64 s0, v1, v0
	v_mov_b32_e32 v1, v0
	s_or_b32 s9, s0, s9
	s_delay_alu instid0(SALU_CYCLE_1)
	s_and_not1_b32 exec_lo, exec_lo, s9
	s_cbranch_execnz .LBB15_36
; %bb.37:
	s_or_b32 exec_lo, exec_lo, s9
	s_wait_dscnt 0x0
	v_bfe_u32 v0, v4, 16, 1
	s_and_b64 s[6:7], s[4:5], 2
	v_cmp_o_f32_e32 vcc_lo, v4, v4
	s_sub_nc_u64 s[2:3], 0, s[6:7]
	s_cmp_eq_u64 s[6:7], 0
	v_add3_u32 v0, v4, v0, 0x7fff
	s_add_nc_u64 s[2:3], s[4:5], s[2:3]
	s_mov_b32 s4, 0
	s_delay_alu instid0(VALU_DEP_1) | instskip(NEXT) | instid1(VALU_DEP_1)
	v_and_b32_e32 v0, 0xffff0000, v0
	v_dual_mov_b32 v2, 0 :: v_dual_cndmask_b32 v3, 0x7fc00000, v0
	global_load_b32 v1, v2, s[2:3]
	s_cselect_b32 vcc_lo, -1, 0
.LBB15_38:                              ; =>This Inner Loop Header: Depth=1
	s_wait_loadcnt 0x0
	v_lshrrev_b32_e32 v0, 16, v1
	v_and_b32_e32 v4, 0xffff, v1
	s_delay_alu instid0(VALU_DEP_1) | instskip(NEXT) | instid1(VALU_DEP_1)
	v_cndmask_b32_e32 v0, v0, v4, vcc_lo
	v_lshlrev_b32_e32 v0, 16, v0
	s_delay_alu instid0(VALU_DEP_1) | instskip(NEXT) | instid1(VALU_DEP_1)
	v_add_f32_e32 v0, v3, v0
	v_bfe_u32 v5, v0, 16, 1
	v_cmp_o_f32_e64 s0, v0, v0
	s_delay_alu instid0(VALU_DEP_2) | instskip(NEXT) | instid1(VALU_DEP_1)
	v_add3_u32 v5, v0, v5, 0x7fff
	v_lshrrev_b32_e32 v5, 16, v5
	s_delay_alu instid0(VALU_DEP_1) | instskip(NEXT) | instid1(VALU_DEP_1)
	v_cndmask_b32_e64 v0, 0x7fc0, v5, s0
	v_lshl_or_b32 v4, v0, 16, v4
	v_and_or_b32 v0, 0xffff0000, v1, v0
	s_delay_alu instid0(VALU_DEP_1)
	v_cndmask_b32_e32 v0, v4, v0, vcc_lo
	global_atomic_cmpswap_b32 v0, v2, v[0:1], s[2:3] th:TH_ATOMIC_RETURN scope:SCOPE_DEV
	s_wait_loadcnt 0x0
	v_cmp_eq_u32_e64 s0, v1, v0
	v_mov_b32_e32 v1, v0
	s_or_b32 s4, s0, s4
	s_delay_alu instid0(SALU_CYCLE_1)
	s_and_not1_b32 exec_lo, exec_lo, s4
	s_cbranch_execnz .LBB15_38
.LBB15_39:
	s_or_b32 exec_lo, exec_lo, s1
	s_delay_alu instid0(SALU_CYCLE_1)
	s_and_not1_b32 s18, s18, exec_lo
	s_or_b32 exec_lo, exec_lo, s8
	s_mov_b32 s0, 0
	s_and_saveexec_b32 s1, s18
	s_cbranch_execz .LBB15_3
.LBB15_40:
	s_mov_b32 s0, exec_lo
	s_trap 2
	s_or_b32 exec_lo, exec_lo, s1
	s_and_saveexec_b32 s1, s15
	s_cbranch_execz .LBB15_4
.LBB15_41:
	s_or_b32 s0, s0, exec_lo
	s_trap 2
	s_or_b32 exec_lo, exec_lo, s1
	s_and_saveexec_b32 s1, s0
	s_cbranch_execz .LBB15_5
.LBB15_42:
	; divergent unreachable
	s_endpgm
	.section	.rodata,"a",@progbits
	.p2align	6, 0x0
	.amdhsa_kernel _ZN2at6native12_GLOBAL__N_125nll_loss2d_forward_kernelIN3c108BFloat16EflEEvPT_S6_PKS5_PKlS8_iiil
		.amdhsa_group_segment_fixed_size 8192
		.amdhsa_private_segment_fixed_size 0
		.amdhsa_kernarg_size 320
		.amdhsa_user_sgpr_count 2
		.amdhsa_user_sgpr_dispatch_ptr 0
		.amdhsa_user_sgpr_queue_ptr 0
		.amdhsa_user_sgpr_kernarg_segment_ptr 1
		.amdhsa_user_sgpr_dispatch_id 0
		.amdhsa_user_sgpr_kernarg_preload_length 0
		.amdhsa_user_sgpr_kernarg_preload_offset 0
		.amdhsa_user_sgpr_private_segment_size 0
		.amdhsa_wavefront_size32 1
		.amdhsa_uses_dynamic_stack 0
		.amdhsa_enable_private_segment 0
		.amdhsa_system_sgpr_workgroup_id_x 1
		.amdhsa_system_sgpr_workgroup_id_y 0
		.amdhsa_system_sgpr_workgroup_id_z 0
		.amdhsa_system_sgpr_workgroup_info 0
		.amdhsa_system_vgpr_workitem_id 0
		.amdhsa_next_free_vgpr 13
		.amdhsa_next_free_sgpr 30
		.amdhsa_named_barrier_count 0
		.amdhsa_reserve_vcc 1
		.amdhsa_float_round_mode_32 0
		.amdhsa_float_round_mode_16_64 0
		.amdhsa_float_denorm_mode_32 3
		.amdhsa_float_denorm_mode_16_64 3
		.amdhsa_fp16_overflow 0
		.amdhsa_memory_ordered 1
		.amdhsa_forward_progress 1
		.amdhsa_inst_pref_size 17
		.amdhsa_round_robin_scheduling 0
		.amdhsa_exception_fp_ieee_invalid_op 0
		.amdhsa_exception_fp_denorm_src 0
		.amdhsa_exception_fp_ieee_div_zero 0
		.amdhsa_exception_fp_ieee_overflow 0
		.amdhsa_exception_fp_ieee_underflow 0
		.amdhsa_exception_fp_ieee_inexact 0
		.amdhsa_exception_int_div_zero 0
	.end_amdhsa_kernel
	.section	.text._ZN2at6native12_GLOBAL__N_125nll_loss2d_forward_kernelIN3c108BFloat16EflEEvPT_S6_PKS5_PKlS8_iiil,"axG",@progbits,_ZN2at6native12_GLOBAL__N_125nll_loss2d_forward_kernelIN3c108BFloat16EflEEvPT_S6_PKS5_PKlS8_iiil,comdat
.Lfunc_end15:
	.size	_ZN2at6native12_GLOBAL__N_125nll_loss2d_forward_kernelIN3c108BFloat16EflEEvPT_S6_PKS5_PKlS8_iiil, .Lfunc_end15-_ZN2at6native12_GLOBAL__N_125nll_loss2d_forward_kernelIN3c108BFloat16EflEEvPT_S6_PKS5_PKlS8_iiil
                                        ; -- End function
	.set _ZN2at6native12_GLOBAL__N_125nll_loss2d_forward_kernelIN3c108BFloat16EflEEvPT_S6_PKS5_PKlS8_iiil.num_vgpr, 13
	.set _ZN2at6native12_GLOBAL__N_125nll_loss2d_forward_kernelIN3c108BFloat16EflEEvPT_S6_PKS5_PKlS8_iiil.num_agpr, 0
	.set _ZN2at6native12_GLOBAL__N_125nll_loss2d_forward_kernelIN3c108BFloat16EflEEvPT_S6_PKS5_PKlS8_iiil.numbered_sgpr, 30
	.set _ZN2at6native12_GLOBAL__N_125nll_loss2d_forward_kernelIN3c108BFloat16EflEEvPT_S6_PKS5_PKlS8_iiil.num_named_barrier, 0
	.set _ZN2at6native12_GLOBAL__N_125nll_loss2d_forward_kernelIN3c108BFloat16EflEEvPT_S6_PKS5_PKlS8_iiil.private_seg_size, 0
	.set _ZN2at6native12_GLOBAL__N_125nll_loss2d_forward_kernelIN3c108BFloat16EflEEvPT_S6_PKS5_PKlS8_iiil.uses_vcc, 1
	.set _ZN2at6native12_GLOBAL__N_125nll_loss2d_forward_kernelIN3c108BFloat16EflEEvPT_S6_PKS5_PKlS8_iiil.uses_flat_scratch, 0
	.set _ZN2at6native12_GLOBAL__N_125nll_loss2d_forward_kernelIN3c108BFloat16EflEEvPT_S6_PKS5_PKlS8_iiil.has_dyn_sized_stack, 0
	.set _ZN2at6native12_GLOBAL__N_125nll_loss2d_forward_kernelIN3c108BFloat16EflEEvPT_S6_PKS5_PKlS8_iiil.has_recursion, 0
	.set _ZN2at6native12_GLOBAL__N_125nll_loss2d_forward_kernelIN3c108BFloat16EflEEvPT_S6_PKS5_PKlS8_iiil.has_indirect_call, 0
	.section	.AMDGPU.csdata,"",@progbits
; Kernel info:
; codeLenInByte = 2112
; TotalNumSgprs: 32
; NumVgprs: 13
; ScratchSize: 0
; MemoryBound: 0
; FloatMode: 240
; IeeeMode: 1
; LDSByteSize: 8192 bytes/workgroup (compile time only)
; SGPRBlocks: 0
; VGPRBlocks: 0
; NumSGPRsForWavesPerEU: 32
; NumVGPRsForWavesPerEU: 13
; NamedBarCnt: 0
; Occupancy: 16
; WaveLimiterHint : 1
; COMPUTE_PGM_RSRC2:SCRATCH_EN: 0
; COMPUTE_PGM_RSRC2:USER_SGPR: 2
; COMPUTE_PGM_RSRC2:TRAP_HANDLER: 0
; COMPUTE_PGM_RSRC2:TGID_X_EN: 1
; COMPUTE_PGM_RSRC2:TGID_Y_EN: 0
; COMPUTE_PGM_RSRC2:TGID_Z_EN: 0
; COMPUTE_PGM_RSRC2:TIDIG_COMP_CNT: 0
	.section	.text._ZN2at6native12_GLOBAL__N_136nll_loss2d_backward_no_reduce_kernelIdEEvlN5torch10headeronly6detail27GenericPackedTensorAccessorINS5_14TensorAccessorIN3c108ArrayRefIlEElLm2ENS4_16DefaultPtrTraitsElEENS_6detail16IndexBoundsCheckILm3ElEElLm3ESB_lEENS6_INS7_ISA_T_Lm2ESB_lEESF_SH_Lm3ESB_lEENS6_INS7_ISA_SH_Lm3ESB_lEENSE_ILm4ElEESH_Lm4ESB_lEEPKSH_l,"axG",@progbits,_ZN2at6native12_GLOBAL__N_136nll_loss2d_backward_no_reduce_kernelIdEEvlN5torch10headeronly6detail27GenericPackedTensorAccessorINS5_14TensorAccessorIN3c108ArrayRefIlEElLm2ENS4_16DefaultPtrTraitsElEENS_6detail16IndexBoundsCheckILm3ElEElLm3ESB_lEENS6_INS7_ISA_T_Lm2ESB_lEESF_SH_Lm3ESB_lEENS6_INS7_ISA_SH_Lm3ESB_lEENSE_ILm4ElEESH_Lm4ESB_lEEPKSH_l,comdat
	.globl	_ZN2at6native12_GLOBAL__N_136nll_loss2d_backward_no_reduce_kernelIdEEvlN5torch10headeronly6detail27GenericPackedTensorAccessorINS5_14TensorAccessorIN3c108ArrayRefIlEElLm2ENS4_16DefaultPtrTraitsElEENS_6detail16IndexBoundsCheckILm3ElEElLm3ESB_lEENS6_INS7_ISA_T_Lm2ESB_lEESF_SH_Lm3ESB_lEENS6_INS7_ISA_SH_Lm3ESB_lEENSE_ILm4ElEESH_Lm4ESB_lEEPKSH_l ; -- Begin function _ZN2at6native12_GLOBAL__N_136nll_loss2d_backward_no_reduce_kernelIdEEvlN5torch10headeronly6detail27GenericPackedTensorAccessorINS5_14TensorAccessorIN3c108ArrayRefIlEElLm2ENS4_16DefaultPtrTraitsElEENS_6detail16IndexBoundsCheckILm3ElEElLm3ESB_lEENS6_INS7_ISA_T_Lm2ESB_lEESF_SH_Lm3ESB_lEENS6_INS7_ISA_SH_Lm3ESB_lEENSE_ILm4ElEESH_Lm4ESB_lEEPKSH_l
	.p2align	8
	.type	_ZN2at6native12_GLOBAL__N_136nll_loss2d_backward_no_reduce_kernelIdEEvlN5torch10headeronly6detail27GenericPackedTensorAccessorINS5_14TensorAccessorIN3c108ArrayRefIlEElLm2ENS4_16DefaultPtrTraitsElEENS_6detail16IndexBoundsCheckILm3ElEElLm3ESB_lEENS6_INS7_ISA_T_Lm2ESB_lEESF_SH_Lm3ESB_lEENS6_INS7_ISA_SH_Lm3ESB_lEENSE_ILm4ElEESH_Lm4ESB_lEEPKSH_l,@function
_ZN2at6native12_GLOBAL__N_136nll_loss2d_backward_no_reduce_kernelIdEEvlN5torch10headeronly6detail27GenericPackedTensorAccessorINS5_14TensorAccessorIN3c108ArrayRefIlEElLm2ENS4_16DefaultPtrTraitsElEENS_6detail16IndexBoundsCheckILm3ElEElLm3ESB_lEENS6_INS7_ISA_T_Lm2ESB_lEESF_SH_Lm3ESB_lEENS6_INS7_ISA_SH_Lm3ESB_lEENSE_ILm4ElEESH_Lm4ESB_lEEPKSH_l: ; @_ZN2at6native12_GLOBAL__N_136nll_loss2d_backward_no_reduce_kernelIdEEvlN5torch10headeronly6detail27GenericPackedTensorAccessorINS5_14TensorAccessorIN3c108ArrayRefIlEElLm2ENS4_16DefaultPtrTraitsElEENS_6detail16IndexBoundsCheckILm3ElEElLm3ESB_lEENS6_INS7_ISA_T_Lm2ESB_lEESF_SH_Lm3ESB_lEENS6_INS7_ISA_SH_Lm3ESB_lEENSE_ILm4ElEESH_Lm4ESB_lEEPKSH_l
; %bb.0:
	s_clause 0x1
	s_load_b32 s4, s[0:1], 0xdc
	s_load_b64 s[2:3], s[0:1], 0x0
	s_bfe_u32 s5, ttmp6, 0x4000c
	v_mov_b32_e32 v2, 0
	s_add_co_i32 s5, s5, 1
	s_and_b32 s6, ttmp6, 15
	s_mul_i32 s5, ttmp9, s5
	s_getreg_b32 s7, hwreg(HW_REG_IB_STS2, 6, 4)
	v_mov_b32_e32 v1, v2
	s_add_co_i32 s6, s6, s5
	s_mov_b32 s35, 0
	s_wait_kmcnt 0x0
	s_and_b32 s33, s4, 0xffff
	s_cmp_eq_u32 s7, 0
	s_cselect_b32 s4, ttmp9, s6
	s_delay_alu instid0(SALU_CYCLE_1) | instskip(SKIP_1) | instid1(VALU_DEP_1)
	v_mad_nc_u64_u32 v[0:1], s33, s4, v[0:1]
	s_mov_b32 s4, exec_lo
	v_cmpx_gt_i64_e64 s[2:3], v[0:1]
	s_cbranch_execz .LBB16_29
; %bb.1:
	s_clause 0x1
	s_load_b128 s[28:31], s[0:1], 0x10
	s_load_b128 s[36:39], s[0:1], 0xc0
	s_add_nc_u64 s[12:13], s[0:1], 0xd0
	s_load_b32 s34, s[12:13], 0x0
	s_clause 0x3
	s_load_b64 s[40:41], s[0:1], 0x8
	s_load_b64 s[42:43], s[0:1], 0x20
	s_load_b256 s[4:11], s[0:1], 0x28
	s_load_b64 s[44:45], s[0:1], 0x88
	s_wait_xcnt 0x0
	s_clause 0x1
	s_load_b256 s[12:19], s[0:1], 0x60
	s_load_b256 s[20:27], s[0:1], 0xa0
	s_mov_b32 s47, s35
	s_mov_b32 s48, s35
	s_mov_b64 s[50:51], 0xffffffff
                                        ; implicit-def: $sgpr60
                                        ; implicit-def: $sgpr61
	s_wait_kmcnt 0x0
	v_cvt_f32_u32_e32 v3, s28
	s_cmp_lg_u64 s[36:37], 0
	s_mul_i32 s46, s34, s33
	s_mul_u64 s[52:53], s[30:31], s[28:29]
	s_cselect_b32 s1, -1, 0
	v_rcp_iflag_f32_e32 v4, v3
	v_nop
	v_mov_b32_e32 v3, v0
	s_mov_b32 s49, s46
	s_ashr_i32 s54, s29, 31
	s_mov_b32 s33, 0
	s_delay_alu instid0(TRANS32_DEP_1) | instskip(NEXT) | instid1(VALU_DEP_1)
	v_mul_f32_e32 v4, 0x4f7ffffe, v4
	v_cvt_u32_f32_e32 v16, v4
	v_mov_b64_e32 v[4:5], v[2:3]
	s_branch .LBB16_3
.LBB16_2:                               ;   in Loop: Header=BB16_3 Depth=1
	s_or_b32 exec_lo, exec_lo, s0
	s_delay_alu instid0(SALU_CYCLE_1) | instskip(NEXT) | instid1(SALU_CYCLE_1)
	s_and_b32 s0, exec_lo, s34
	s_or_b32 s33, s0, s33
	s_and_not1_b32 s0, s60, exec_lo
	s_and_b32 s34, s61, exec_lo
	s_delay_alu instid0(SALU_CYCLE_1)
	s_or_b32 s60, s0, s34
	s_and_not1_b32 exec_lo, exec_lo, s33
	s_cbranch_execz .LBB16_28
.LBB16_3:                               ; =>This Inner Loop Header: Depth=1
	s_delay_alu instid0(VALU_DEP_1) | instskip(SKIP_1) | instid1(VALU_DEP_1)
	v_dual_mov_b32 v6, v5 :: v_dual_ashrrev_i32 v7, 31, v5
                                        ; implicit-def: $vgpr8_vgpr9
	s_mov_b32 s0, exec_lo
	v_dual_ashrrev_i32 v10, 31, v7 :: v_dual_bitop2_b32 v3, s29, v7 bitop3:0x54
	s_delay_alu instid0(VALU_DEP_1)
	v_cmpx_ne_u64_e32 0, v[2:3]
	s_xor_b32 s58, exec_lo, s0
	s_cbranch_execz .LBB16_5
; %bb.4:                                ;   in Loop: Header=BB16_3 Depth=1
	s_mov_b32 s55, s54
	v_dual_mov_b32 v11, v10 :: v_dual_mov_b32 v13, v2
	s_add_nc_u64 s[56:57], s[28:29], s[54:55]
	v_mov_b32_e32 v19, v2
	s_xor_b64 s[56:57], s[56:57], s[54:55]
	s_delay_alu instid0(VALU_DEP_2) | instskip(SKIP_4) | instid1(SALU_CYCLE_1)
	v_add_nc_u64_e32 v[8:9], v[6:7], v[10:11]
	s_cvt_f32_u32 s0, s56
	s_cvt_f32_u32 s34, s57
	s_sub_nc_u64 s[64:65], 0, s[56:57]
	v_mov_b32_e32 v23, v2
	s_fmamk_f32 s0, s34, 0x4f800000, s0
	s_delay_alu instid0(VALU_DEP_2) | instskip(SKIP_1) | instid1(SALU_CYCLE_1)
	v_xor_b32_e32 v12, v8, v10
	v_xor_b32_e32 v18, v9, v10
	v_s_rcp_f32 s0, s0
	s_delay_alu instid0(TRANS32_DEP_1) | instskip(NEXT) | instid1(SALU_CYCLE_3)
	s_mul_f32 s0, s0, 0x5f7ffffc
	s_mul_f32 s34, s0, 0x2f800000
	s_delay_alu instid0(SALU_CYCLE_3) | instskip(NEXT) | instid1(SALU_CYCLE_3)
	s_trunc_f32 s34, s34
	s_fmamk_f32 s0, s34, 0xcf800000, s0
	s_cvt_u32_f32 s63, s34
	s_delay_alu instid0(SALU_CYCLE_2) | instskip(NEXT) | instid1(SALU_CYCLE_3)
	s_cvt_u32_f32 s62, s0
	s_mul_u64 s[66:67], s[64:65], s[62:63]
	s_delay_alu instid0(SALU_CYCLE_1)
	s_mul_hi_u32 s69, s62, s67
	s_mul_i32 s68, s62, s67
	s_mul_hi_u32 s34, s62, s66
	s_mul_i32 s55, s63, s66
	s_add_nc_u64 s[68:69], s[34:35], s[68:69]
	s_mul_hi_u32 s0, s63, s66
	s_mul_hi_u32 s59, s63, s67
	s_add_co_u32 s34, s68, s55
	s_add_co_ci_u32 s34, s69, s0
	s_mul_i32 s66, s63, s67
	s_add_co_ci_u32 s67, s59, 0
	s_delay_alu instid0(SALU_CYCLE_1) | instskip(NEXT) | instid1(SALU_CYCLE_1)
	s_add_nc_u64 s[66:67], s[34:35], s[66:67]
	s_add_co_u32 s62, s62, s66
	s_cselect_b32 s0, -1, 0
	s_delay_alu instid0(SALU_CYCLE_1) | instskip(SKIP_1) | instid1(SALU_CYCLE_1)
	s_cmp_lg_u32 s0, 0
	s_add_co_ci_u32 s63, s63, s67
	s_mul_u64 s[64:65], s[64:65], s[62:63]
	s_delay_alu instid0(SALU_CYCLE_1)
	s_mul_hi_u32 s67, s62, s65
	s_mul_i32 s66, s62, s65
	s_mul_hi_u32 s34, s62, s64
	s_mul_i32 s55, s63, s64
	s_add_nc_u64 s[66:67], s[34:35], s[66:67]
	s_mul_hi_u32 s0, s63, s64
	s_mul_hi_u32 s59, s63, s65
	s_add_co_u32 s34, s66, s55
	s_add_co_ci_u32 s34, s67, s0
	s_mul_i32 s64, s63, s65
	s_add_co_ci_u32 s65, s59, 0
	s_delay_alu instid0(SALU_CYCLE_1) | instskip(NEXT) | instid1(SALU_CYCLE_1)
	s_add_nc_u64 s[64:65], s[34:35], s[64:65]
	s_add_co_u32 s0, s62, s64
	s_cselect_b32 s34, -1, 0
	v_nop
	v_mul_hi_u32 v22, v12, s0
	s_cmp_lg_u32 s34, 0
	s_add_co_ci_u32 s34, s63, s65
	s_and_b64 s[62:63], s[0:1], s[50:51]
	v_mul_u64_e32 v[14:15], s[34:35], v[12:13]
	v_mul_u64_e32 v[8:9], s[62:63], v[18:19]
	;; [unrolled: 1-line block ×3, first 2 shown]
	s_delay_alu instid0(VALU_DEP_3) | instskip(NEXT) | instid1(VALU_DEP_1)
	v_add_nc_u64_e32 v[14:15], v[22:23], v[14:15]
	v_add_co_u32 v3, vcc_lo, v14, v8
	s_delay_alu instid0(VALU_DEP_2) | instskip(NEXT) | instid1(VALU_DEP_4)
	v_add_co_ci_u32_e32 v22, vcc_lo, v15, v9, vcc_lo
	v_add_co_ci_u32_e32 v21, vcc_lo, 0, v21, vcc_lo
	s_delay_alu instid0(VALU_DEP_1) | instskip(NEXT) | instid1(VALU_DEP_1)
	v_add_nc_u64_e32 v[8:9], v[22:23], v[20:21]
	v_mul_u64_e32 v[14:15], s[56:57], v[8:9]
	s_delay_alu instid0(VALU_DEP_1) | instskip(NEXT) | instid1(VALU_DEP_2)
	v_sub_nc_u32_e32 v3, v18, v15
	v_sub_co_u32 v11, vcc_lo, v12, v14
	s_delay_alu instid0(VALU_DEP_1) | instskip(NEXT) | instid1(VALU_DEP_3)
	v_sub_co_ci_u32_e64 v17, null, v18, v15, vcc_lo
	v_subrev_co_ci_u32_e64 v3, null, s57, v3, vcc_lo
	s_delay_alu instid0(VALU_DEP_3) | instskip(SKIP_1) | instid1(VALU_DEP_3)
	v_sub_co_u32 v12, s0, v11, s56
	v_add_nc_u64_e32 v[14:15], 1, v[8:9]
	v_subrev_co_ci_u32_e64 v3, null, 0, v3, s0
	s_delay_alu instid0(VALU_DEP_3) | instskip(SKIP_1) | instid1(VALU_DEP_3)
	v_cmp_le_u32_e32 vcc_lo, s56, v12
	v_cndmask_b32_e64 v12, 0, -1, vcc_lo
	v_cmp_le_u32_e32 vcc_lo, s57, v3
	v_cndmask_b32_e64 v13, 0, -1, vcc_lo
	;; [unrolled: 2-line block ×4, first 2 shown]
	v_cmp_eq_u32_e32 vcc_lo, s57, v3
	v_cndmask_b32_e32 v3, v13, v12, vcc_lo
	v_cmp_eq_u32_e32 vcc_lo, s57, v17
	v_add_nc_u64_e32 v[12:13], 2, v[8:9]
	v_cndmask_b32_e32 v11, v18, v11, vcc_lo
	s_delay_alu instid0(VALU_DEP_4) | instskip(NEXT) | instid1(VALU_DEP_2)
	v_cmp_ne_u32_e32 vcc_lo, 0, v3
	v_cmp_ne_u32_e64 s0, 0, v11
	s_delay_alu instid0(VALU_DEP_4) | instskip(NEXT) | instid1(VALU_DEP_1)
	v_dual_cndmask_b32 v3, v15, v13, vcc_lo :: v_dual_cndmask_b32 v11, v14, v12, vcc_lo
	v_dual_cndmask_b32 v3, v9, v3, s0 :: v_dual_bitop2_b32 v12, s54, v10 bitop3:0x14
	s_delay_alu instid0(VALU_DEP_1) | instskip(NEXT) | instid1(VALU_DEP_2)
	v_mov_b32_e32 v13, v12
	v_dual_cndmask_b32 v8, v8, v11, s0 :: v_dual_bitop2_b32 v9, v3, v12 bitop3:0x14
	s_delay_alu instid0(VALU_DEP_1) | instskip(NEXT) | instid1(VALU_DEP_1)
	v_xor_b32_e32 v8, v8, v12
	v_sub_nc_u64_e32 v[8:9], v[8:9], v[12:13]
.LBB16_5:                               ;   in Loop: Header=BB16_3 Depth=1
	s_and_not1_saveexec_b32 s0, s58
	s_cbranch_execz .LBB16_7
; %bb.6:                                ;   in Loop: Header=BB16_3 Depth=1
	s_sub_co_i32 s34, 0, s28
	s_delay_alu instid0(SALU_CYCLE_1) | instskip(NEXT) | instid1(VALU_DEP_1)
	v_mul_lo_u32 v3, s34, v16
	v_mul_hi_u32 v3, v16, v3
	s_delay_alu instid0(VALU_DEP_1) | instskip(NEXT) | instid1(VALU_DEP_1)
	v_add_nc_u32_e32 v3, v16, v3
	v_mul_hi_u32 v3, v6, v3
	s_delay_alu instid0(VALU_DEP_1) | instskip(NEXT) | instid1(VALU_DEP_1)
	v_mul_lo_u32 v8, v3, s28
	v_dual_add_nc_u32 v9, 1, v3 :: v_dual_sub_nc_u32 v8, v6, v8
	s_delay_alu instid0(VALU_DEP_1) | instskip(SKIP_1) | instid1(VALU_DEP_2)
	v_subrev_nc_u32_e32 v11, s28, v8
	v_cmp_le_u32_e32 vcc_lo, s28, v8
	v_dual_cndmask_b32 v8, v8, v11 :: v_dual_cndmask_b32 v3, v3, v9
	s_delay_alu instid0(VALU_DEP_1) | instskip(NEXT) | instid1(VALU_DEP_2)
	v_cmp_le_u32_e32 vcc_lo, s28, v8
	v_add_nc_u32_e32 v9, 1, v3
	s_delay_alu instid0(VALU_DEP_1)
	v_dual_cndmask_b32 v8, v3, v9 :: v_dual_mov_b32 v9, v2
.LBB16_7:                               ;   in Loop: Header=BB16_3 Depth=1
	s_or_b32 exec_lo, exec_lo, s0
	s_delay_alu instid0(VALU_DEP_1) | instskip(SKIP_1) | instid1(VALU_DEP_1)
	v_or_b32_e32 v3, s31, v9
                                        ; implicit-def: $vgpr12_vgpr13
	s_mov_b32 s0, exec_lo
	v_cmpx_ne_u64_e32 0, v[2:3]
	s_xor_b32 s55, exec_lo, s0
	s_cbranch_execz .LBB16_9
; %bb.8:                                ;   in Loop: Header=BB16_3 Depth=1
	s_ashr_i32 s56, s31, 31
	v_dual_mov_b32 v19, v2 :: v_dual_ashrrev_i32 v12, 31, v9
	s_mov_b32 s57, s56
	v_mov_b32_e32 v27, v2
	s_add_nc_u64 s[58:59], s[30:31], s[56:57]
	s_delay_alu instid0(VALU_DEP_2) | instskip(SKIP_1) | instid1(SALU_CYCLE_1)
	v_mov_b32_e32 v13, v12
	s_xor_b64 s[56:57], s[58:59], s[56:57]
	s_cvt_f32_u32 s0, s56
	s_cvt_f32_u32 s34, s57
	s_sub_nc_u64 s[62:63], 0, s[56:57]
	v_add_nc_u64_e32 v[14:15], v[8:9], v[12:13]
	v_mov_b32_e32 v23, v2
	s_fmamk_f32 s0, s34, 0x4f800000, s0
	s_delay_alu instid0(SALU_CYCLE_3) | instskip(NEXT) | instid1(VALU_DEP_2)
	v_s_rcp_f32 s0, s0
	v_xor_b32_e32 v18, v14, v12
	s_delay_alu instid0(VALU_DEP_3) | instskip(NEXT) | instid1(TRANS32_DEP_1)
	v_xor_b32_e32 v22, v15, v12
	s_mul_f32 s0, s0, 0x5f7ffffc
	s_delay_alu instid0(SALU_CYCLE_3) | instskip(NEXT) | instid1(SALU_CYCLE_3)
	s_mul_f32 s34, s0, 0x2f800000
	s_trunc_f32 s34, s34
	s_delay_alu instid0(SALU_CYCLE_3) | instskip(SKIP_1) | instid1(SALU_CYCLE_2)
	s_fmamk_f32 s0, s34, 0xcf800000, s0
	s_cvt_u32_f32 s59, s34
	s_cvt_u32_f32 s58, s0
	s_delay_alu instid0(SALU_CYCLE_3) | instskip(NEXT) | instid1(SALU_CYCLE_1)
	s_mul_u64 s[64:65], s[62:63], s[58:59]
	s_mul_hi_u32 s67, s58, s65
	s_mul_i32 s66, s58, s65
	s_mul_hi_u32 s34, s58, s64
	s_mul_i32 s68, s59, s64
	s_add_nc_u64 s[66:67], s[34:35], s[66:67]
	s_mul_hi_u32 s0, s59, s64
	s_mul_hi_u32 s69, s59, s65
	s_add_co_u32 s34, s66, s68
	s_add_co_ci_u32 s34, s67, s0
	s_mul_i32 s64, s59, s65
	s_add_co_ci_u32 s65, s69, 0
	s_delay_alu instid0(SALU_CYCLE_1) | instskip(NEXT) | instid1(SALU_CYCLE_1)
	s_add_nc_u64 s[64:65], s[34:35], s[64:65]
	s_add_co_u32 s58, s58, s64
	s_cselect_b32 s0, -1, 0
	s_delay_alu instid0(SALU_CYCLE_1) | instskip(SKIP_1) | instid1(SALU_CYCLE_1)
	s_cmp_lg_u32 s0, 0
	s_add_co_ci_u32 s59, s59, s65
	s_mul_u64 s[62:63], s[62:63], s[58:59]
	s_delay_alu instid0(SALU_CYCLE_1)
	s_mul_hi_u32 s65, s58, s63
	s_mul_i32 s64, s58, s63
	s_mul_hi_u32 s34, s58, s62
	s_mul_i32 s66, s59, s62
	s_add_nc_u64 s[64:65], s[34:35], s[64:65]
	s_mul_hi_u32 s0, s59, s62
	s_mul_hi_u32 s67, s59, s63
	s_add_co_u32 s34, s64, s66
	s_add_co_ci_u32 s34, s65, s0
	s_mul_i32 s62, s59, s63
	s_add_co_ci_u32 s63, s67, 0
	s_delay_alu instid0(SALU_CYCLE_1) | instskip(NEXT) | instid1(SALU_CYCLE_1)
	s_add_nc_u64 s[62:63], s[34:35], s[62:63]
	s_add_co_u32 s0, s58, s62
	s_cselect_b32 s34, -1, 0
	v_mul_hi_u32 v26, v18, s0
	s_cmp_lg_u32 s34, 0
	s_add_co_ci_u32 s34, s59, s63
	s_and_b64 s[58:59], s[0:1], s[50:51]
	v_mul_u64_e32 v[20:21], s[34:35], v[18:19]
	v_mul_u64_e32 v[14:15], s[58:59], v[22:23]
	;; [unrolled: 1-line block ×3, first 2 shown]
	s_delay_alu instid0(VALU_DEP_3) | instskip(NEXT) | instid1(VALU_DEP_1)
	v_add_nc_u64_e32 v[20:21], v[26:27], v[20:21]
	v_add_co_u32 v3, vcc_lo, v20, v14
	s_delay_alu instid0(VALU_DEP_2) | instskip(NEXT) | instid1(VALU_DEP_4)
	v_add_co_ci_u32_e32 v26, vcc_lo, v21, v15, vcc_lo
	v_add_co_ci_u32_e32 v25, vcc_lo, 0, v25, vcc_lo
	s_delay_alu instid0(VALU_DEP_1) | instskip(NEXT) | instid1(VALU_DEP_1)
	v_add_nc_u64_e32 v[14:15], v[26:27], v[24:25]
	v_mul_u64_e32 v[14:15], s[56:57], v[14:15]
	s_delay_alu instid0(VALU_DEP_1) | instskip(NEXT) | instid1(VALU_DEP_1)
	v_sub_co_u32 v11, vcc_lo, v18, v14
	v_sub_co_ci_u32_e64 v14, null, v22, v15, vcc_lo
	s_delay_alu instid0(VALU_DEP_2) | instskip(NEXT) | instid1(VALU_DEP_1)
	v_cmp_le_u32_e64 s0, s56, v11
	v_cndmask_b32_e64 v18, 0, -1, s0
	v_sub_nc_u32_e32 v3, v22, v15
	s_delay_alu instid0(VALU_DEP_1) | instskip(SKIP_1) | instid1(VALU_DEP_1)
	v_subrev_co_ci_u32_e64 v3, null, s57, v3, vcc_lo
	v_sub_co_u32 v15, vcc_lo, v11, s56
	v_subrev_co_ci_u32_e64 v17, null, 0, v3, vcc_lo
	s_delay_alu instid0(VALU_DEP_2) | instskip(SKIP_2) | instid1(VALU_DEP_3)
	v_cmp_le_u32_e64 s0, s56, v15
	v_subrev_co_ci_u32_e64 v3, null, s57, v3, vcc_lo
	v_cmp_le_u32_e32 vcc_lo, s57, v14
	v_cndmask_b32_e64 v19, 0, -1, s0
	v_cmp_le_u32_e64 s0, s57, v17
	v_cndmask_b32_e64 v21, 0, -1, vcc_lo
	v_cmp_eq_u32_e32 vcc_lo, s57, v17
	s_delay_alu instid0(VALU_DEP_3) | instskip(SKIP_1) | instid1(VALU_DEP_2)
	v_cndmask_b32_e64 v20, 0, -1, s0
	v_cmp_eq_u32_e64 s0, s57, v14
	v_cndmask_b32_e32 v19, v20, v19, vcc_lo
	v_sub_co_u32 v20, vcc_lo, v15, s56
	s_delay_alu instid0(VALU_DEP_1) | instskip(NEXT) | instid1(VALU_DEP_3)
	v_subrev_co_ci_u32_e64 v3, null, 0, v3, vcc_lo
	v_cmp_ne_u32_e32 vcc_lo, 0, v19
	v_cndmask_b32_e64 v18, v21, v18, s0
	s_delay_alu instid0(VALU_DEP_3) | instskip(NEXT) | instid1(VALU_DEP_2)
	v_dual_cndmask_b32 v3, v17, v3, vcc_lo :: v_dual_cndmask_b32 v15, v15, v20, vcc_lo
	v_cmp_ne_u32_e32 vcc_lo, 0, v18
	s_delay_alu instid0(VALU_DEP_2) | instskip(NEXT) | instid1(VALU_DEP_1)
	v_cndmask_b32_e32 v11, v11, v15, vcc_lo
	v_dual_cndmask_b32 v3, v14, v3, vcc_lo :: v_dual_bitop2_b32 v14, v11, v12 bitop3:0x14
	s_delay_alu instid0(VALU_DEP_1) | instskip(NEXT) | instid1(VALU_DEP_1)
	v_xor_b32_e32 v15, v3, v12
	v_sub_nc_u64_e32 v[12:13], v[14:15], v[12:13]
.LBB16_9:                               ;   in Loop: Header=BB16_3 Depth=1
	s_and_not1_saveexec_b32 s0, s55
	s_cbranch_execz .LBB16_11
; %bb.10:                               ;   in Loop: Header=BB16_3 Depth=1
	v_cvt_f32_u32_e32 v3, s30
	s_sub_co_i32 s34, 0, s30
	v_mov_b32_e32 v13, v2
	s_delay_alu instid0(VALU_DEP_2) | instskip(SKIP_1) | instid1(TRANS32_DEP_1)
	v_rcp_iflag_f32_e32 v3, v3
	v_nop
	v_mul_f32_e32 v3, 0x4f7ffffe, v3
	s_delay_alu instid0(VALU_DEP_1) | instskip(NEXT) | instid1(VALU_DEP_1)
	v_cvt_u32_f32_e32 v3, v3
	v_mul_lo_u32 v11, s34, v3
	s_delay_alu instid0(VALU_DEP_1) | instskip(NEXT) | instid1(VALU_DEP_1)
	v_mul_hi_u32 v11, v3, v11
	v_add_nc_u32_e32 v3, v3, v11
	s_delay_alu instid0(VALU_DEP_1) | instskip(NEXT) | instid1(VALU_DEP_1)
	v_mul_hi_u32 v3, v8, v3
	v_mul_lo_u32 v3, v3, s30
	s_delay_alu instid0(VALU_DEP_1) | instskip(NEXT) | instid1(VALU_DEP_1)
	v_sub_nc_u32_e32 v3, v8, v3
	v_subrev_nc_u32_e32 v11, s30, v3
	v_cmp_le_u32_e32 vcc_lo, s30, v3
	s_delay_alu instid0(VALU_DEP_2) | instskip(NEXT) | instid1(VALU_DEP_1)
	v_cndmask_b32_e32 v3, v3, v11, vcc_lo
	v_subrev_nc_u32_e32 v11, s30, v3
	v_cmp_le_u32_e32 vcc_lo, s30, v3
	s_delay_alu instid0(VALU_DEP_2)
	v_cndmask_b32_e32 v12, v3, v11, vcc_lo
.LBB16_11:                              ;   in Loop: Header=BB16_3 Depth=1
	s_or_b32 exec_lo, exec_lo, s0
	v_or_b32_e32 v3, s53, v7
                                        ; implicit-def: $vgpr14_vgpr15
	s_mov_b32 s0, exec_lo
	s_delay_alu instid0(VALU_DEP_1)
	v_cmpx_ne_u64_e32 0, v[2:3]
	s_xor_b32 s55, exec_lo, s0
	s_cbranch_execz .LBB16_13
; %bb.12:                               ;   in Loop: Header=BB16_3 Depth=1
	s_ashr_i32 s56, s53, 31
	v_dual_mov_b32 v11, v10 :: v_dual_mov_b32 v19, v2
	s_mov_b32 s57, s56
	v_mov_b32_e32 v27, v2
	s_add_nc_u64 s[58:59], s[52:53], s[56:57]
	s_delay_alu instid0(VALU_DEP_2)
	v_add_nc_u64_e32 v[14:15], v[6:7], v[10:11]
	s_xor_b64 s[58:59], s[58:59], s[56:57]
	v_mov_b32_e32 v23, v2
	s_cvt_f32_u32 s0, s58
	s_cvt_f32_u32 s34, s59
	s_sub_nc_u64 s[64:65], 0, s[58:59]
	s_delay_alu instid0(VALU_DEP_2) | instskip(NEXT) | instid1(SALU_CYCLE_1)
	v_xor_b32_e32 v18, v14, v10
	s_fmamk_f32 s0, s34, 0x4f800000, s0
	v_xor_b32_e32 v22, v15, v10
	v_xor_b32_e32 v10, s56, v10
	s_delay_alu instid0(SALU_CYCLE_1) | instskip(NEXT) | instid1(TRANS32_DEP_1)
	v_s_rcp_f32 s0, s0
	s_mul_f32 s0, s0, 0x5f7ffffc
	s_delay_alu instid0(SALU_CYCLE_3) | instskip(NEXT) | instid1(SALU_CYCLE_3)
	s_mul_f32 s34, s0, 0x2f800000
	s_trunc_f32 s34, s34
	s_delay_alu instid0(SALU_CYCLE_3) | instskip(SKIP_1) | instid1(SALU_CYCLE_2)
	s_fmamk_f32 s0, s34, 0xcf800000, s0
	s_cvt_u32_f32 s63, s34
	s_cvt_u32_f32 s62, s0
	s_delay_alu instid0(SALU_CYCLE_3) | instskip(NEXT) | instid1(SALU_CYCLE_1)
	s_mul_u64 s[66:67], s[64:65], s[62:63]
	s_mul_hi_u32 s69, s62, s67
	s_mul_i32 s68, s62, s67
	s_mul_hi_u32 s34, s62, s66
	s_mul_i32 s57, s63, s66
	s_add_nc_u64 s[68:69], s[34:35], s[68:69]
	s_mul_hi_u32 s0, s63, s66
	s_mul_hi_u32 s70, s63, s67
	s_add_co_u32 s34, s68, s57
	s_add_co_ci_u32 s34, s69, s0
	s_mul_i32 s66, s63, s67
	s_add_co_ci_u32 s67, s70, 0
	s_delay_alu instid0(SALU_CYCLE_1) | instskip(NEXT) | instid1(SALU_CYCLE_1)
	s_add_nc_u64 s[66:67], s[34:35], s[66:67]
	s_add_co_u32 s62, s62, s66
	s_cselect_b32 s0, -1, 0
	s_delay_alu instid0(SALU_CYCLE_1) | instskip(SKIP_1) | instid1(SALU_CYCLE_1)
	s_cmp_lg_u32 s0, 0
	s_add_co_ci_u32 s63, s63, s67
	s_mul_u64 s[64:65], s[64:65], s[62:63]
	s_delay_alu instid0(SALU_CYCLE_1)
	s_mul_hi_u32 s67, s62, s65
	s_mul_i32 s66, s62, s65
	s_mul_hi_u32 s34, s62, s64
	s_mul_i32 s57, s63, s64
	s_add_nc_u64 s[66:67], s[34:35], s[66:67]
	s_mul_hi_u32 s0, s63, s64
	s_mul_hi_u32 s68, s63, s65
	s_add_co_u32 s34, s66, s57
	s_add_co_ci_u32 s34, s67, s0
	s_mul_i32 s64, s63, s65
	s_add_co_ci_u32 s65, s68, 0
	s_delay_alu instid0(SALU_CYCLE_1) | instskip(NEXT) | instid1(SALU_CYCLE_1)
	s_add_nc_u64 s[64:65], s[34:35], s[64:65]
	s_add_co_u32 s0, s62, s64
	s_cselect_b32 s34, -1, 0
	v_nop
	v_mul_hi_u32 v26, v18, s0
	s_cmp_lg_u32 s34, 0
	s_add_co_ci_u32 s34, s63, s65
	s_and_b64 s[62:63], s[0:1], s[50:51]
	v_mul_u64_e32 v[20:21], s[34:35], v[18:19]
	v_mul_u64_e32 v[14:15], s[62:63], v[22:23]
	;; [unrolled: 1-line block ×3, first 2 shown]
	s_delay_alu instid0(VALU_DEP_3) | instskip(NEXT) | instid1(VALU_DEP_1)
	v_add_nc_u64_e32 v[20:21], v[26:27], v[20:21]
	v_add_co_u32 v3, vcc_lo, v20, v14
	s_delay_alu instid0(VALU_DEP_2) | instskip(NEXT) | instid1(VALU_DEP_4)
	v_add_co_ci_u32_e32 v26, vcc_lo, v21, v15, vcc_lo
	v_add_co_ci_u32_e32 v25, vcc_lo, 0, v25, vcc_lo
	s_delay_alu instid0(VALU_DEP_1) | instskip(NEXT) | instid1(VALU_DEP_1)
	v_add_nc_u64_e32 v[14:15], v[26:27], v[24:25]
	v_mul_u64_e32 v[20:21], s[58:59], v[14:15]
	s_delay_alu instid0(VALU_DEP_1) | instskip(NEXT) | instid1(VALU_DEP_2)
	v_sub_nc_u32_e32 v3, v22, v21
	v_sub_co_u32 v11, vcc_lo, v18, v20
	s_delay_alu instid0(VALU_DEP_1) | instskip(NEXT) | instid1(VALU_DEP_3)
	v_sub_co_ci_u32_e64 v22, null, v22, v21, vcc_lo
	v_subrev_co_ci_u32_e64 v3, null, s59, v3, vcc_lo
	s_delay_alu instid0(VALU_DEP_3) | instskip(SKIP_1) | instid1(VALU_DEP_3)
	v_sub_co_u32 v17, s0, v11, s58
	v_add_nc_u64_e32 v[20:21], 1, v[14:15]
	v_subrev_co_ci_u32_e64 v3, null, 0, v3, s0
	s_delay_alu instid0(VALU_DEP_3) | instskip(SKIP_1) | instid1(VALU_DEP_3)
	v_cmp_le_u32_e32 vcc_lo, s58, v17
	v_cndmask_b32_e64 v17, 0, -1, vcc_lo
	v_cmp_le_u32_e32 vcc_lo, s59, v3
	v_cndmask_b32_e64 v18, 0, -1, vcc_lo
	;; [unrolled: 2-line block ×4, first 2 shown]
	v_cmp_eq_u32_e32 vcc_lo, s59, v3
	v_cndmask_b32_e32 v3, v18, v17, vcc_lo
	v_cmp_eq_u32_e32 vcc_lo, s59, v22
	v_add_nc_u64_e32 v[18:19], 2, v[14:15]
	v_cndmask_b32_e32 v11, v23, v11, vcc_lo
	s_delay_alu instid0(VALU_DEP_4) | instskip(NEXT) | instid1(VALU_DEP_2)
	v_cmp_ne_u32_e32 vcc_lo, 0, v3
	v_cmp_ne_u32_e64 s0, 0, v11
	s_delay_alu instid0(VALU_DEP_4) | instskip(NEXT) | instid1(VALU_DEP_1)
	v_dual_cndmask_b32 v3, v21, v19, vcc_lo :: v_dual_cndmask_b32 v11, v20, v18, vcc_lo
	v_cndmask_b32_e64 v3, v15, v3, s0
	s_delay_alu instid0(VALU_DEP_2) | instskip(NEXT) | instid1(VALU_DEP_2)
	v_cndmask_b32_e64 v14, v14, v11, s0
	v_dual_mov_b32 v11, v10 :: v_dual_bitop2_b32 v15, v3, v10 bitop3:0x14
	s_delay_alu instid0(VALU_DEP_2) | instskip(NEXT) | instid1(VALU_DEP_1)
	v_xor_b32_e32 v14, v14, v10
	v_sub_nc_u64_e32 v[14:15], v[14:15], v[10:11]
.LBB16_13:                              ;   in Loop: Header=BB16_3 Depth=1
	s_and_not1_saveexec_b32 s0, s55
	s_cbranch_execz .LBB16_15
; %bb.14:                               ;   in Loop: Header=BB16_3 Depth=1
	v_cvt_f32_u32_e32 v3, s52
	s_sub_co_i32 s34, 0, s52
	v_mov_b32_e32 v15, v2
	s_delay_alu instid0(VALU_DEP_2) | instskip(SKIP_1) | instid1(TRANS32_DEP_1)
	v_rcp_iflag_f32_e32 v3, v3
	v_nop
	v_mul_f32_e32 v3, 0x4f7ffffe, v3
	s_delay_alu instid0(VALU_DEP_1) | instskip(NEXT) | instid1(VALU_DEP_1)
	v_cvt_u32_f32_e32 v3, v3
	v_mul_lo_u32 v10, s34, v3
	s_delay_alu instid0(VALU_DEP_1) | instskip(NEXT) | instid1(VALU_DEP_1)
	v_mul_hi_u32 v10, v3, v10
	v_add_nc_u32_e32 v3, v3, v10
	s_delay_alu instid0(VALU_DEP_1) | instskip(NEXT) | instid1(VALU_DEP_1)
	v_mul_hi_u32 v3, v5, v3
	v_mul_lo_u32 v10, v3, s52
	s_delay_alu instid0(VALU_DEP_1) | instskip(NEXT) | instid1(VALU_DEP_1)
	v_sub_nc_u32_e32 v10, v5, v10
	v_subrev_nc_u32_e32 v14, s52, v10
	v_cmp_le_u32_e32 vcc_lo, s52, v10
	s_delay_alu instid0(VALU_DEP_2) | instskip(NEXT) | instid1(VALU_DEP_1)
	v_dual_cndmask_b32 v10, v10, v14 :: v_dual_add_nc_u32 v11, 1, v3
	v_cndmask_b32_e32 v3, v3, v11, vcc_lo
	s_delay_alu instid0(VALU_DEP_2) | instskip(NEXT) | instid1(VALU_DEP_2)
	v_cmp_le_u32_e32 vcc_lo, s52, v10
	v_add_nc_u32_e32 v11, 1, v3
	s_delay_alu instid0(VALU_DEP_1)
	v_cndmask_b32_e32 v14, v3, v11, vcc_lo
.LBB16_15:                              ;   in Loop: Header=BB16_3 Depth=1
	s_or_b32 exec_lo, exec_lo, s0
	s_delay_alu instid0(VALU_DEP_1) | instskip(SKIP_1) | instid1(VALU_DEP_1)
	v_or_b32_e32 v3, s43, v15
                                        ; implicit-def: $vgpr10_vgpr11
	s_mov_b32 s0, exec_lo
	v_cmpx_ne_u64_e32 0, v[2:3]
	s_xor_b32 s55, exec_lo, s0
	s_cbranch_execz .LBB16_17
; %bb.16:                               ;   in Loop: Header=BB16_3 Depth=1
	s_ashr_i32 s56, s43, 31
	v_dual_mov_b32 v19, v2 :: v_dual_ashrrev_i32 v10, 31, v15
	s_mov_b32 s57, s56
	v_mov_b32_e32 v23, v2
	s_add_nc_u64 s[58:59], s[42:43], s[56:57]
	s_delay_alu instid0(VALU_DEP_2)
	v_mov_b32_e32 v11, v10
	s_xor_b64 s[56:57], s[58:59], s[56:57]
	v_mov_b32_e32 v27, v2
	s_cvt_f32_u32 s0, s56
	s_cvt_f32_u32 s34, s57
	s_sub_nc_u64 s[62:63], 0, s[56:57]
	v_add_nc_u64_e32 v[14:15], v[14:15], v[10:11]
	s_delay_alu instid0(SALU_CYCLE_1) | instskip(NEXT) | instid1(SALU_CYCLE_3)
	s_fmamk_f32 s0, s34, 0x4f800000, s0
	v_s_rcp_f32 s0, s0
	s_delay_alu instid0(VALU_DEP_1) | instskip(NEXT) | instid1(VALU_DEP_2)
	v_xor_b32_e32 v18, v14, v10
	v_xor_b32_e32 v22, v15, v10
	s_delay_alu instid0(TRANS32_DEP_1) | instskip(NEXT) | instid1(SALU_CYCLE_3)
	s_mul_f32 s0, s0, 0x5f7ffffc
	s_mul_f32 s34, s0, 0x2f800000
	s_delay_alu instid0(SALU_CYCLE_3) | instskip(NEXT) | instid1(SALU_CYCLE_3)
	s_trunc_f32 s34, s34
	s_fmamk_f32 s0, s34, 0xcf800000, s0
	s_cvt_u32_f32 s59, s34
	s_delay_alu instid0(SALU_CYCLE_2) | instskip(NEXT) | instid1(SALU_CYCLE_3)
	s_cvt_u32_f32 s58, s0
	s_mul_u64 s[64:65], s[62:63], s[58:59]
	s_delay_alu instid0(SALU_CYCLE_1)
	s_mul_hi_u32 s67, s58, s65
	s_mul_i32 s66, s58, s65
	s_mul_hi_u32 s34, s58, s64
	s_mul_i32 s68, s59, s64
	s_add_nc_u64 s[66:67], s[34:35], s[66:67]
	s_mul_hi_u32 s0, s59, s64
	s_mul_hi_u32 s69, s59, s65
	s_add_co_u32 s34, s66, s68
	s_add_co_ci_u32 s34, s67, s0
	s_mul_i32 s64, s59, s65
	s_add_co_ci_u32 s65, s69, 0
	s_delay_alu instid0(SALU_CYCLE_1) | instskip(NEXT) | instid1(SALU_CYCLE_1)
	s_add_nc_u64 s[64:65], s[34:35], s[64:65]
	s_add_co_u32 s58, s58, s64
	s_cselect_b32 s0, -1, 0
	s_delay_alu instid0(SALU_CYCLE_1) | instskip(SKIP_1) | instid1(SALU_CYCLE_1)
	s_cmp_lg_u32 s0, 0
	s_add_co_ci_u32 s59, s59, s65
	s_mul_u64 s[62:63], s[62:63], s[58:59]
	s_delay_alu instid0(SALU_CYCLE_1)
	s_mul_hi_u32 s65, s58, s63
	s_mul_i32 s64, s58, s63
	s_mul_hi_u32 s34, s58, s62
	s_mul_i32 s66, s59, s62
	s_add_nc_u64 s[64:65], s[34:35], s[64:65]
	s_mul_hi_u32 s0, s59, s62
	s_mul_hi_u32 s67, s59, s63
	s_add_co_u32 s34, s64, s66
	s_add_co_ci_u32 s34, s65, s0
	s_mul_i32 s62, s59, s63
	s_add_co_ci_u32 s63, s67, 0
	s_delay_alu instid0(SALU_CYCLE_1) | instskip(NEXT) | instid1(SALU_CYCLE_1)
	s_add_nc_u64 s[62:63], s[34:35], s[62:63]
	s_add_co_u32 s0, s58, s62
	s_cselect_b32 s34, -1, 0
	v_mul_hi_u32 v26, v18, s0
	s_cmp_lg_u32 s34, 0
	s_add_co_ci_u32 s34, s59, s63
	s_and_b64 s[58:59], s[0:1], s[50:51]
	v_mul_u64_e32 v[20:21], s[34:35], v[18:19]
	v_mul_u64_e32 v[14:15], s[58:59], v[22:23]
	;; [unrolled: 1-line block ×3, first 2 shown]
	s_delay_alu instid0(VALU_DEP_3) | instskip(NEXT) | instid1(VALU_DEP_1)
	v_add_nc_u64_e32 v[20:21], v[26:27], v[20:21]
	v_add_co_u32 v3, vcc_lo, v20, v14
	s_delay_alu instid0(VALU_DEP_2) | instskip(NEXT) | instid1(VALU_DEP_4)
	v_add_co_ci_u32_e32 v26, vcc_lo, v21, v15, vcc_lo
	v_add_co_ci_u32_e32 v25, vcc_lo, 0, v25, vcc_lo
	s_delay_alu instid0(VALU_DEP_1) | instskip(NEXT) | instid1(VALU_DEP_1)
	v_add_nc_u64_e32 v[14:15], v[26:27], v[24:25]
	v_mul_u64_e32 v[14:15], s[56:57], v[14:15]
	s_delay_alu instid0(VALU_DEP_1) | instskip(NEXT) | instid1(VALU_DEP_2)
	v_sub_nc_u32_e32 v3, v22, v15
	v_sub_co_u32 v14, vcc_lo, v18, v14
	s_delay_alu instid0(VALU_DEP_1) | instskip(NEXT) | instid1(VALU_DEP_3)
	v_sub_co_ci_u32_e64 v15, null, v22, v15, vcc_lo
	v_subrev_co_ci_u32_e64 v3, null, s57, v3, vcc_lo
	s_delay_alu instid0(VALU_DEP_3) | instskip(SKIP_1) | instid1(VALU_DEP_3)
	v_sub_co_u32 v17, vcc_lo, v14, s56
	v_cmp_le_u32_e64 s0, s56, v14
	v_subrev_co_ci_u32_e64 v18, null, 0, v3, vcc_lo
	v_subrev_co_ci_u32_e64 v3, null, s57, v3, vcc_lo
	s_delay_alu instid0(VALU_DEP_3) | instskip(SKIP_2) | instid1(VALU_DEP_2)
	v_cndmask_b32_e64 v19, 0, -1, s0
	v_cmp_le_u32_e64 s0, s56, v17
	v_cmp_le_u32_e32 vcc_lo, s57, v15
	v_cndmask_b32_e64 v20, 0, -1, s0
	v_cmp_le_u32_e64 s0, s57, v18
	v_cndmask_b32_e64 v22, 0, -1, vcc_lo
	v_cmp_eq_u32_e32 vcc_lo, s57, v18
	s_delay_alu instid0(VALU_DEP_3) | instskip(SKIP_1) | instid1(VALU_DEP_2)
	v_cndmask_b32_e64 v21, 0, -1, s0
	v_cmp_eq_u32_e64 s0, s57, v15
	v_cndmask_b32_e32 v20, v21, v20, vcc_lo
	v_sub_co_u32 v21, vcc_lo, v17, s56
	s_delay_alu instid0(VALU_DEP_1) | instskip(NEXT) | instid1(VALU_DEP_3)
	v_subrev_co_ci_u32_e64 v3, null, 0, v3, vcc_lo
	v_cmp_ne_u32_e32 vcc_lo, 0, v20
	v_cndmask_b32_e64 v19, v22, v19, s0
	s_delay_alu instid0(VALU_DEP_3) | instskip(NEXT) | instid1(VALU_DEP_2)
	v_dual_cndmask_b32 v3, v18, v3, vcc_lo :: v_dual_cndmask_b32 v17, v17, v21, vcc_lo
	v_cmp_ne_u32_e32 vcc_lo, 0, v19
	s_delay_alu instid0(VALU_DEP_2) | instskip(NEXT) | instid1(VALU_DEP_1)
	v_dual_cndmask_b32 v3, v15, v3 :: v_dual_cndmask_b32 v14, v14, v17
	v_xor_b32_e32 v15, v3, v10
	s_delay_alu instid0(VALU_DEP_2) | instskip(NEXT) | instid1(VALU_DEP_1)
	v_xor_b32_e32 v14, v14, v10
	v_sub_nc_u64_e32 v[10:11], v[14:15], v[10:11]
                                        ; implicit-def: $vgpr14_vgpr15
.LBB16_17:                              ;   in Loop: Header=BB16_3 Depth=1
	s_and_not1_saveexec_b32 s0, s55
	s_cbranch_execz .LBB16_19
; %bb.18:                               ;   in Loop: Header=BB16_3 Depth=1
	v_cvt_f32_u32_e32 v3, s42
	s_sub_co_i32 s34, 0, s42
	v_mov_b32_e32 v11, v2
	s_delay_alu instid0(VALU_DEP_2) | instskip(SKIP_1) | instid1(TRANS32_DEP_1)
	v_rcp_iflag_f32_e32 v3, v3
	v_nop
	v_mul_f32_e32 v3, 0x4f7ffffe, v3
	s_delay_alu instid0(VALU_DEP_1) | instskip(NEXT) | instid1(VALU_DEP_1)
	v_cvt_u32_f32_e32 v3, v3
	v_mul_lo_u32 v10, s34, v3
	s_delay_alu instid0(VALU_DEP_1) | instskip(NEXT) | instid1(VALU_DEP_1)
	v_mul_hi_u32 v10, v3, v10
	v_add_nc_u32_e32 v3, v3, v10
	s_delay_alu instid0(VALU_DEP_1) | instskip(NEXT) | instid1(VALU_DEP_1)
	v_mul_hi_u32 v3, v14, v3
	v_mul_lo_u32 v3, v3, s42
	s_delay_alu instid0(VALU_DEP_1) | instskip(NEXT) | instid1(VALU_DEP_1)
	v_sub_nc_u32_e32 v3, v14, v3
	v_subrev_nc_u32_e32 v10, s42, v3
	v_cmp_le_u32_e32 vcc_lo, s42, v3
	s_delay_alu instid0(VALU_DEP_2) | instskip(NEXT) | instid1(VALU_DEP_1)
	v_cndmask_b32_e32 v3, v3, v10, vcc_lo
	v_subrev_nc_u32_e32 v10, s42, v3
	v_cmp_le_u32_e32 vcc_lo, s42, v3
	s_delay_alu instid0(VALU_DEP_2)
	v_cndmask_b32_e32 v10, v3, v10, vcc_lo
.LBB16_19:                              ;   in Loop: Header=BB16_3 Depth=1
	s_or_b32 exec_lo, exec_lo, s0
	v_mul_u64_e32 v[8:9], s[28:29], v[8:9]
	v_mul_u64_e32 v[14:15], s[6:7], v[12:13]
	s_delay_alu instid0(VALU_DEP_3) | instskip(SKIP_3) | instid1(VALU_DEP_3)
	v_mul_u64_e32 v[18:19], s[8:9], v[10:11]
	s_mov_b32 s34, -1
	s_mov_b32 s56, -1
	s_mov_b32 s55, exec_lo
	v_sub_nc_u64_e32 v[6:7], v[6:7], v[8:9]
	s_delay_alu instid0(VALU_DEP_1) | instskip(NEXT) | instid1(VALU_DEP_1)
	v_mul_u64_e32 v[8:9], s[4:5], v[6:7]
	v_lshl_add_u64 v[8:9], v[8:9], 3, s[40:41]
	s_delay_alu instid0(VALU_DEP_1) | instskip(NEXT) | instid1(VALU_DEP_1)
	v_lshl_add_u64 v[8:9], v[14:15], 3, v[8:9]
	v_lshl_add_u64 v[8:9], v[18:19], 3, v[8:9]
	global_load_b64 v[8:9], v[8:9], off
	s_wait_loadcnt 0x0
	s_wait_xcnt 0x0
	v_cmpx_ne_u64_e64 s[38:39], v[8:9]
	s_cbranch_execz .LBB16_26
; %bb.20:                               ;   in Loop: Header=BB16_3 Depth=1
	v_cmp_lt_i64_e32 vcc_lo, -1, v[8:9]
	v_cmp_gt_i64_e64 s0, s[44:45], v[8:9]
	s_mov_b32 s56, 0
	s_and_b32 s57, vcc_lo, s0
	s_delay_alu instid0(SALU_CYCLE_1)
	s_and_saveexec_b32 s0, s57
	s_cbranch_execz .LBB16_25
; %bb.21:                               ;   in Loop: Header=BB16_3 Depth=1
	s_and_not1_b32 vcc_lo, exec_lo, s1
	s_cbranch_vccnz .LBB16_23
; %bb.22:                               ;   in Loop: Header=BB16_3 Depth=1
	v_lshl_add_u64 v[14:15], v[8:9], 3, s[36:37]
	global_load_b64 v[14:15], v[14:15], off
	s_branch .LBB16_24
.LBB16_23:                              ;   in Loop: Header=BB16_3 Depth=1
	v_mov_b64_e32 v[14:15], 1.0
.LBB16_24:                              ;   in Loop: Header=BB16_3 Depth=1
	v_mul_u64_e32 v[18:19], s[12:13], v[6:7]
	v_mul_u64_e32 v[20:21], s[14:15], v[12:13]
	;; [unrolled: 1-line block ×7, first 2 shown]
	s_mov_b32 s56, exec_lo
	v_lshl_add_u64 v[18:19], v[18:19], 3, s[10:11]
	v_lshl_add_u64 v[6:7], v[6:7], 3, s[18:19]
	s_delay_alu instid0(VALU_DEP_2) | instskip(NEXT) | instid1(VALU_DEP_2)
	v_lshl_add_u64 v[18:19], v[20:21], 3, v[18:19]
	v_lshl_add_u64 v[6:7], v[8:9], 3, v[6:7]
	s_delay_alu instid0(VALU_DEP_2) | instskip(NEXT) | instid1(VALU_DEP_2)
	v_lshl_add_u64 v[18:19], v[22:23], 3, v[18:19]
	v_lshl_add_u64 v[6:7], v[12:13], 3, v[6:7]
	global_load_b64 v[18:19], v[18:19], off
	v_lshl_add_u64 v[6:7], v[10:11], 3, v[6:7]
	s_wait_loadcnt 0x0
	s_wait_xcnt 0x1
	v_mul_f64_e64 v[14:15], v[18:19], -v[14:15]
	global_store_b64 v[6:7], v[14:15], off
.LBB16_25:                              ;   in Loop: Header=BB16_3 Depth=1
	s_wait_xcnt 0x0
	s_or_b32 exec_lo, exec_lo, s0
	s_delay_alu instid0(SALU_CYCLE_1)
	s_or_not1_b32 s56, s56, exec_lo
.LBB16_26:                              ;   in Loop: Header=BB16_3 Depth=1
	s_or_b32 exec_lo, exec_lo, s55
	s_delay_alu instid0(SALU_CYCLE_1)
	s_or_b32 s61, s61, exec_lo
	s_and_saveexec_b32 s0, s56
	s_cbranch_execz .LBB16_2
; %bb.27:                               ;   in Loop: Header=BB16_3 Depth=1
	v_add_nc_u64_e32 v[0:1], s[46:47], v[0:1]
	v_add_nc_u64_e32 v[4:5], s[48:49], v[4:5]
	s_and_not1_b32 s61, s61, exec_lo
	s_delay_alu instid0(VALU_DEP_2)
	v_cmp_le_i64_e32 vcc_lo, s[2:3], v[0:1]
	s_or_not1_b32 s34, vcc_lo, exec_lo
	s_branch .LBB16_2
.LBB16_28:
	s_or_b32 exec_lo, exec_lo, s33
	s_and_saveexec_b32 s0, s60
	s_delay_alu instid0(SALU_CYCLE_1)
	s_xor_b32 s0, exec_lo, s0
	s_cbranch_execnz .LBB16_30
.LBB16_29:
	s_endpgm
.LBB16_30:
	s_trap 2
	; divergent unreachable
	s_endpgm
	.section	.rodata,"a",@progbits
	.p2align	6, 0x0
	.amdhsa_kernel _ZN2at6native12_GLOBAL__N_136nll_loss2d_backward_no_reduce_kernelIdEEvlN5torch10headeronly6detail27GenericPackedTensorAccessorINS5_14TensorAccessorIN3c108ArrayRefIlEElLm2ENS4_16DefaultPtrTraitsElEENS_6detail16IndexBoundsCheckILm3ElEElLm3ESB_lEENS6_INS7_ISA_T_Lm2ESB_lEESF_SH_Lm3ESB_lEENS6_INS7_ISA_SH_Lm3ESB_lEENSE_ILm4ElEESH_Lm4ESB_lEEPKSH_l
		.amdhsa_group_segment_fixed_size 0
		.amdhsa_private_segment_fixed_size 0
		.amdhsa_kernarg_size 464
		.amdhsa_user_sgpr_count 2
		.amdhsa_user_sgpr_dispatch_ptr 0
		.amdhsa_user_sgpr_queue_ptr 0
		.amdhsa_user_sgpr_kernarg_segment_ptr 1
		.amdhsa_user_sgpr_dispatch_id 0
		.amdhsa_user_sgpr_kernarg_preload_length 0
		.amdhsa_user_sgpr_kernarg_preload_offset 0
		.amdhsa_user_sgpr_private_segment_size 0
		.amdhsa_wavefront_size32 1
		.amdhsa_uses_dynamic_stack 0
		.amdhsa_enable_private_segment 0
		.amdhsa_system_sgpr_workgroup_id_x 1
		.amdhsa_system_sgpr_workgroup_id_y 0
		.amdhsa_system_sgpr_workgroup_id_z 0
		.amdhsa_system_sgpr_workgroup_info 0
		.amdhsa_system_vgpr_workitem_id 0
		.amdhsa_next_free_vgpr 28
		.amdhsa_next_free_sgpr 71
		.amdhsa_named_barrier_count 0
		.amdhsa_reserve_vcc 1
		.amdhsa_float_round_mode_32 0
		.amdhsa_float_round_mode_16_64 0
		.amdhsa_float_denorm_mode_32 3
		.amdhsa_float_denorm_mode_16_64 3
		.amdhsa_fp16_overflow 0
		.amdhsa_memory_ordered 1
		.amdhsa_forward_progress 1
		.amdhsa_inst_pref_size 29
		.amdhsa_round_robin_scheduling 0
		.amdhsa_exception_fp_ieee_invalid_op 0
		.amdhsa_exception_fp_denorm_src 0
		.amdhsa_exception_fp_ieee_div_zero 0
		.amdhsa_exception_fp_ieee_overflow 0
		.amdhsa_exception_fp_ieee_underflow 0
		.amdhsa_exception_fp_ieee_inexact 0
		.amdhsa_exception_int_div_zero 0
	.end_amdhsa_kernel
	.section	.text._ZN2at6native12_GLOBAL__N_136nll_loss2d_backward_no_reduce_kernelIdEEvlN5torch10headeronly6detail27GenericPackedTensorAccessorINS5_14TensorAccessorIN3c108ArrayRefIlEElLm2ENS4_16DefaultPtrTraitsElEENS_6detail16IndexBoundsCheckILm3ElEElLm3ESB_lEENS6_INS7_ISA_T_Lm2ESB_lEESF_SH_Lm3ESB_lEENS6_INS7_ISA_SH_Lm3ESB_lEENSE_ILm4ElEESH_Lm4ESB_lEEPKSH_l,"axG",@progbits,_ZN2at6native12_GLOBAL__N_136nll_loss2d_backward_no_reduce_kernelIdEEvlN5torch10headeronly6detail27GenericPackedTensorAccessorINS5_14TensorAccessorIN3c108ArrayRefIlEElLm2ENS4_16DefaultPtrTraitsElEENS_6detail16IndexBoundsCheckILm3ElEElLm3ESB_lEENS6_INS7_ISA_T_Lm2ESB_lEESF_SH_Lm3ESB_lEENS6_INS7_ISA_SH_Lm3ESB_lEENSE_ILm4ElEESH_Lm4ESB_lEEPKSH_l,comdat
.Lfunc_end16:
	.size	_ZN2at6native12_GLOBAL__N_136nll_loss2d_backward_no_reduce_kernelIdEEvlN5torch10headeronly6detail27GenericPackedTensorAccessorINS5_14TensorAccessorIN3c108ArrayRefIlEElLm2ENS4_16DefaultPtrTraitsElEENS_6detail16IndexBoundsCheckILm3ElEElLm3ESB_lEENS6_INS7_ISA_T_Lm2ESB_lEESF_SH_Lm3ESB_lEENS6_INS7_ISA_SH_Lm3ESB_lEENSE_ILm4ElEESH_Lm4ESB_lEEPKSH_l, .Lfunc_end16-_ZN2at6native12_GLOBAL__N_136nll_loss2d_backward_no_reduce_kernelIdEEvlN5torch10headeronly6detail27GenericPackedTensorAccessorINS5_14TensorAccessorIN3c108ArrayRefIlEElLm2ENS4_16DefaultPtrTraitsElEENS_6detail16IndexBoundsCheckILm3ElEElLm3ESB_lEENS6_INS7_ISA_T_Lm2ESB_lEESF_SH_Lm3ESB_lEENS6_INS7_ISA_SH_Lm3ESB_lEENSE_ILm4ElEESH_Lm4ESB_lEEPKSH_l
                                        ; -- End function
	.set _ZN2at6native12_GLOBAL__N_136nll_loss2d_backward_no_reduce_kernelIdEEvlN5torch10headeronly6detail27GenericPackedTensorAccessorINS5_14TensorAccessorIN3c108ArrayRefIlEElLm2ENS4_16DefaultPtrTraitsElEENS_6detail16IndexBoundsCheckILm3ElEElLm3ESB_lEENS6_INS7_ISA_T_Lm2ESB_lEESF_SH_Lm3ESB_lEENS6_INS7_ISA_SH_Lm3ESB_lEENSE_ILm4ElEESH_Lm4ESB_lEEPKSH_l.num_vgpr, 28
	.set _ZN2at6native12_GLOBAL__N_136nll_loss2d_backward_no_reduce_kernelIdEEvlN5torch10headeronly6detail27GenericPackedTensorAccessorINS5_14TensorAccessorIN3c108ArrayRefIlEElLm2ENS4_16DefaultPtrTraitsElEENS_6detail16IndexBoundsCheckILm3ElEElLm3ESB_lEENS6_INS7_ISA_T_Lm2ESB_lEESF_SH_Lm3ESB_lEENS6_INS7_ISA_SH_Lm3ESB_lEENSE_ILm4ElEESH_Lm4ESB_lEEPKSH_l.num_agpr, 0
	.set _ZN2at6native12_GLOBAL__N_136nll_loss2d_backward_no_reduce_kernelIdEEvlN5torch10headeronly6detail27GenericPackedTensorAccessorINS5_14TensorAccessorIN3c108ArrayRefIlEElLm2ENS4_16DefaultPtrTraitsElEENS_6detail16IndexBoundsCheckILm3ElEElLm3ESB_lEENS6_INS7_ISA_T_Lm2ESB_lEESF_SH_Lm3ESB_lEENS6_INS7_ISA_SH_Lm3ESB_lEENSE_ILm4ElEESH_Lm4ESB_lEEPKSH_l.numbered_sgpr, 71
	.set _ZN2at6native12_GLOBAL__N_136nll_loss2d_backward_no_reduce_kernelIdEEvlN5torch10headeronly6detail27GenericPackedTensorAccessorINS5_14TensorAccessorIN3c108ArrayRefIlEElLm2ENS4_16DefaultPtrTraitsElEENS_6detail16IndexBoundsCheckILm3ElEElLm3ESB_lEENS6_INS7_ISA_T_Lm2ESB_lEESF_SH_Lm3ESB_lEENS6_INS7_ISA_SH_Lm3ESB_lEENSE_ILm4ElEESH_Lm4ESB_lEEPKSH_l.num_named_barrier, 0
	.set _ZN2at6native12_GLOBAL__N_136nll_loss2d_backward_no_reduce_kernelIdEEvlN5torch10headeronly6detail27GenericPackedTensorAccessorINS5_14TensorAccessorIN3c108ArrayRefIlEElLm2ENS4_16DefaultPtrTraitsElEENS_6detail16IndexBoundsCheckILm3ElEElLm3ESB_lEENS6_INS7_ISA_T_Lm2ESB_lEESF_SH_Lm3ESB_lEENS6_INS7_ISA_SH_Lm3ESB_lEENSE_ILm4ElEESH_Lm4ESB_lEEPKSH_l.private_seg_size, 0
	.set _ZN2at6native12_GLOBAL__N_136nll_loss2d_backward_no_reduce_kernelIdEEvlN5torch10headeronly6detail27GenericPackedTensorAccessorINS5_14TensorAccessorIN3c108ArrayRefIlEElLm2ENS4_16DefaultPtrTraitsElEENS_6detail16IndexBoundsCheckILm3ElEElLm3ESB_lEENS6_INS7_ISA_T_Lm2ESB_lEESF_SH_Lm3ESB_lEENS6_INS7_ISA_SH_Lm3ESB_lEENSE_ILm4ElEESH_Lm4ESB_lEEPKSH_l.uses_vcc, 1
	.set _ZN2at6native12_GLOBAL__N_136nll_loss2d_backward_no_reduce_kernelIdEEvlN5torch10headeronly6detail27GenericPackedTensorAccessorINS5_14TensorAccessorIN3c108ArrayRefIlEElLm2ENS4_16DefaultPtrTraitsElEENS_6detail16IndexBoundsCheckILm3ElEElLm3ESB_lEENS6_INS7_ISA_T_Lm2ESB_lEESF_SH_Lm3ESB_lEENS6_INS7_ISA_SH_Lm3ESB_lEENSE_ILm4ElEESH_Lm4ESB_lEEPKSH_l.uses_flat_scratch, 0
	.set _ZN2at6native12_GLOBAL__N_136nll_loss2d_backward_no_reduce_kernelIdEEvlN5torch10headeronly6detail27GenericPackedTensorAccessorINS5_14TensorAccessorIN3c108ArrayRefIlEElLm2ENS4_16DefaultPtrTraitsElEENS_6detail16IndexBoundsCheckILm3ElEElLm3ESB_lEENS6_INS7_ISA_T_Lm2ESB_lEESF_SH_Lm3ESB_lEENS6_INS7_ISA_SH_Lm3ESB_lEENSE_ILm4ElEESH_Lm4ESB_lEEPKSH_l.has_dyn_sized_stack, 0
	.set _ZN2at6native12_GLOBAL__N_136nll_loss2d_backward_no_reduce_kernelIdEEvlN5torch10headeronly6detail27GenericPackedTensorAccessorINS5_14TensorAccessorIN3c108ArrayRefIlEElLm2ENS4_16DefaultPtrTraitsElEENS_6detail16IndexBoundsCheckILm3ElEElLm3ESB_lEENS6_INS7_ISA_T_Lm2ESB_lEESF_SH_Lm3ESB_lEENS6_INS7_ISA_SH_Lm3ESB_lEENSE_ILm4ElEESH_Lm4ESB_lEEPKSH_l.has_recursion, 0
	.set _ZN2at6native12_GLOBAL__N_136nll_loss2d_backward_no_reduce_kernelIdEEvlN5torch10headeronly6detail27GenericPackedTensorAccessorINS5_14TensorAccessorIN3c108ArrayRefIlEElLm2ENS4_16DefaultPtrTraitsElEENS_6detail16IndexBoundsCheckILm3ElEElLm3ESB_lEENS6_INS7_ISA_T_Lm2ESB_lEESF_SH_Lm3ESB_lEENS6_INS7_ISA_SH_Lm3ESB_lEENSE_ILm4ElEESH_Lm4ESB_lEEPKSH_l.has_indirect_call, 0
	.section	.AMDGPU.csdata,"",@progbits
; Kernel info:
; codeLenInByte = 3684
; TotalNumSgprs: 73
; NumVgprs: 28
; ScratchSize: 0
; MemoryBound: 0
; FloatMode: 240
; IeeeMode: 1
; LDSByteSize: 0 bytes/workgroup (compile time only)
; SGPRBlocks: 0
; VGPRBlocks: 1
; NumSGPRsForWavesPerEU: 73
; NumVGPRsForWavesPerEU: 28
; NamedBarCnt: 0
; Occupancy: 16
; WaveLimiterHint : 1
; COMPUTE_PGM_RSRC2:SCRATCH_EN: 0
; COMPUTE_PGM_RSRC2:USER_SGPR: 2
; COMPUTE_PGM_RSRC2:TRAP_HANDLER: 0
; COMPUTE_PGM_RSRC2:TGID_X_EN: 1
; COMPUTE_PGM_RSRC2:TGID_Y_EN: 0
; COMPUTE_PGM_RSRC2:TGID_Z_EN: 0
; COMPUTE_PGM_RSRC2:TIDIG_COMP_CNT: 0
	.section	.text._ZN2at6native12_GLOBAL__N_136nll_loss2d_backward_no_reduce_kernelIfEEvlN5torch10headeronly6detail27GenericPackedTensorAccessorINS5_14TensorAccessorIN3c108ArrayRefIlEElLm2ENS4_16DefaultPtrTraitsElEENS_6detail16IndexBoundsCheckILm3ElEElLm3ESB_lEENS6_INS7_ISA_T_Lm2ESB_lEESF_SH_Lm3ESB_lEENS6_INS7_ISA_SH_Lm3ESB_lEENSE_ILm4ElEESH_Lm4ESB_lEEPKSH_l,"axG",@progbits,_ZN2at6native12_GLOBAL__N_136nll_loss2d_backward_no_reduce_kernelIfEEvlN5torch10headeronly6detail27GenericPackedTensorAccessorINS5_14TensorAccessorIN3c108ArrayRefIlEElLm2ENS4_16DefaultPtrTraitsElEENS_6detail16IndexBoundsCheckILm3ElEElLm3ESB_lEENS6_INS7_ISA_T_Lm2ESB_lEESF_SH_Lm3ESB_lEENS6_INS7_ISA_SH_Lm3ESB_lEENSE_ILm4ElEESH_Lm4ESB_lEEPKSH_l,comdat
	.globl	_ZN2at6native12_GLOBAL__N_136nll_loss2d_backward_no_reduce_kernelIfEEvlN5torch10headeronly6detail27GenericPackedTensorAccessorINS5_14TensorAccessorIN3c108ArrayRefIlEElLm2ENS4_16DefaultPtrTraitsElEENS_6detail16IndexBoundsCheckILm3ElEElLm3ESB_lEENS6_INS7_ISA_T_Lm2ESB_lEESF_SH_Lm3ESB_lEENS6_INS7_ISA_SH_Lm3ESB_lEENSE_ILm4ElEESH_Lm4ESB_lEEPKSH_l ; -- Begin function _ZN2at6native12_GLOBAL__N_136nll_loss2d_backward_no_reduce_kernelIfEEvlN5torch10headeronly6detail27GenericPackedTensorAccessorINS5_14TensorAccessorIN3c108ArrayRefIlEElLm2ENS4_16DefaultPtrTraitsElEENS_6detail16IndexBoundsCheckILm3ElEElLm3ESB_lEENS6_INS7_ISA_T_Lm2ESB_lEESF_SH_Lm3ESB_lEENS6_INS7_ISA_SH_Lm3ESB_lEENSE_ILm4ElEESH_Lm4ESB_lEEPKSH_l
	.p2align	8
	.type	_ZN2at6native12_GLOBAL__N_136nll_loss2d_backward_no_reduce_kernelIfEEvlN5torch10headeronly6detail27GenericPackedTensorAccessorINS5_14TensorAccessorIN3c108ArrayRefIlEElLm2ENS4_16DefaultPtrTraitsElEENS_6detail16IndexBoundsCheckILm3ElEElLm3ESB_lEENS6_INS7_ISA_T_Lm2ESB_lEESF_SH_Lm3ESB_lEENS6_INS7_ISA_SH_Lm3ESB_lEENSE_ILm4ElEESH_Lm4ESB_lEEPKSH_l,@function
_ZN2at6native12_GLOBAL__N_136nll_loss2d_backward_no_reduce_kernelIfEEvlN5torch10headeronly6detail27GenericPackedTensorAccessorINS5_14TensorAccessorIN3c108ArrayRefIlEElLm2ENS4_16DefaultPtrTraitsElEENS_6detail16IndexBoundsCheckILm3ElEElLm3ESB_lEENS6_INS7_ISA_T_Lm2ESB_lEESF_SH_Lm3ESB_lEENS6_INS7_ISA_SH_Lm3ESB_lEENSE_ILm4ElEESH_Lm4ESB_lEEPKSH_l: ; @_ZN2at6native12_GLOBAL__N_136nll_loss2d_backward_no_reduce_kernelIfEEvlN5torch10headeronly6detail27GenericPackedTensorAccessorINS5_14TensorAccessorIN3c108ArrayRefIlEElLm2ENS4_16DefaultPtrTraitsElEENS_6detail16IndexBoundsCheckILm3ElEElLm3ESB_lEENS6_INS7_ISA_T_Lm2ESB_lEESF_SH_Lm3ESB_lEENS6_INS7_ISA_SH_Lm3ESB_lEENSE_ILm4ElEESH_Lm4ESB_lEEPKSH_l
; %bb.0:
	s_clause 0x1
	s_load_b32 s4, s[0:1], 0xdc
	s_load_b64 s[2:3], s[0:1], 0x0
	s_bfe_u32 s5, ttmp6, 0x4000c
	v_mov_b32_e32 v2, 0
	s_add_co_i32 s5, s5, 1
	s_and_b32 s6, ttmp6, 15
	s_mul_i32 s5, ttmp9, s5
	s_getreg_b32 s7, hwreg(HW_REG_IB_STS2, 6, 4)
	v_mov_b32_e32 v1, v2
	s_add_co_i32 s6, s6, s5
	s_mov_b32 s35, 0
	s_wait_kmcnt 0x0
	s_and_b32 s33, s4, 0xffff
	s_cmp_eq_u32 s7, 0
	s_cselect_b32 s4, ttmp9, s6
	s_delay_alu instid0(SALU_CYCLE_1) | instskip(SKIP_1) | instid1(VALU_DEP_1)
	v_mad_nc_u64_u32 v[0:1], s33, s4, v[0:1]
	s_mov_b32 s4, exec_lo
	v_cmpx_gt_i64_e64 s[2:3], v[0:1]
	s_cbranch_execz .LBB17_29
; %bb.1:
	s_clause 0x1
	s_load_b128 s[28:31], s[0:1], 0x10
	s_load_b128 s[36:39], s[0:1], 0xc0
	s_add_nc_u64 s[12:13], s[0:1], 0xd0
	s_load_b32 s34, s[12:13], 0x0
	s_clause 0x3
	s_load_b64 s[40:41], s[0:1], 0x8
	s_load_b64 s[42:43], s[0:1], 0x20
	s_load_b256 s[4:11], s[0:1], 0x28
	s_load_b64 s[44:45], s[0:1], 0x88
	s_wait_xcnt 0x0
	s_clause 0x1
	s_load_b256 s[12:19], s[0:1], 0x60
	s_load_b256 s[20:27], s[0:1], 0xa0
	s_mov_b32 s47, s35
	s_mov_b32 s48, s35
	s_mov_b64 s[50:51], 0xffffffff
                                        ; implicit-def: $sgpr60
                                        ; implicit-def: $sgpr61
	s_wait_kmcnt 0x0
	v_cvt_f32_u32_e32 v3, s28
	s_cmp_lg_u64 s[36:37], 0
	s_mul_i32 s46, s34, s33
	s_mul_u64 s[52:53], s[30:31], s[28:29]
	s_cselect_b32 s1, -1, 0
	v_rcp_iflag_f32_e32 v4, v3
	v_nop
	v_mov_b32_e32 v3, v0
	s_mov_b32 s49, s46
	s_ashr_i32 s54, s29, 31
	s_mov_b32 s33, 0
	s_delay_alu instid0(TRANS32_DEP_1) | instskip(NEXT) | instid1(VALU_DEP_1)
	v_mul_f32_e32 v4, 0x4f7ffffe, v4
	v_cvt_u32_f32_e32 v16, v4
	v_mov_b64_e32 v[4:5], v[2:3]
	s_branch .LBB17_3
.LBB17_2:                               ;   in Loop: Header=BB17_3 Depth=1
	s_or_b32 exec_lo, exec_lo, s0
	s_delay_alu instid0(SALU_CYCLE_1) | instskip(NEXT) | instid1(SALU_CYCLE_1)
	s_and_b32 s0, exec_lo, s34
	s_or_b32 s33, s0, s33
	s_and_not1_b32 s0, s60, exec_lo
	s_and_b32 s34, s61, exec_lo
	s_delay_alu instid0(SALU_CYCLE_1)
	s_or_b32 s60, s0, s34
	s_and_not1_b32 exec_lo, exec_lo, s33
	s_cbranch_execz .LBB17_28
.LBB17_3:                               ; =>This Inner Loop Header: Depth=1
	s_delay_alu instid0(VALU_DEP_1) | instskip(SKIP_1) | instid1(VALU_DEP_1)
	v_dual_mov_b32 v6, v5 :: v_dual_ashrrev_i32 v7, 31, v5
                                        ; implicit-def: $vgpr8_vgpr9
	s_mov_b32 s0, exec_lo
	v_dual_ashrrev_i32 v10, 31, v7 :: v_dual_bitop2_b32 v3, s29, v7 bitop3:0x54
	s_delay_alu instid0(VALU_DEP_1)
	v_cmpx_ne_u64_e32 0, v[2:3]
	s_xor_b32 s58, exec_lo, s0
	s_cbranch_execz .LBB17_5
; %bb.4:                                ;   in Loop: Header=BB17_3 Depth=1
	s_mov_b32 s55, s54
	v_dual_mov_b32 v11, v10 :: v_dual_mov_b32 v13, v2
	s_add_nc_u64 s[56:57], s[28:29], s[54:55]
	v_mov_b32_e32 v19, v2
	s_xor_b64 s[56:57], s[56:57], s[54:55]
	s_delay_alu instid0(VALU_DEP_2) | instskip(SKIP_4) | instid1(SALU_CYCLE_1)
	v_add_nc_u64_e32 v[8:9], v[6:7], v[10:11]
	s_cvt_f32_u32 s0, s56
	s_cvt_f32_u32 s34, s57
	s_sub_nc_u64 s[64:65], 0, s[56:57]
	v_mov_b32_e32 v23, v2
	s_fmamk_f32 s0, s34, 0x4f800000, s0
	s_delay_alu instid0(VALU_DEP_2) | instskip(SKIP_1) | instid1(SALU_CYCLE_1)
	v_xor_b32_e32 v12, v8, v10
	v_xor_b32_e32 v18, v9, v10
	v_s_rcp_f32 s0, s0
	s_delay_alu instid0(TRANS32_DEP_1) | instskip(NEXT) | instid1(SALU_CYCLE_3)
	s_mul_f32 s0, s0, 0x5f7ffffc
	s_mul_f32 s34, s0, 0x2f800000
	s_delay_alu instid0(SALU_CYCLE_3) | instskip(NEXT) | instid1(SALU_CYCLE_3)
	s_trunc_f32 s34, s34
	s_fmamk_f32 s0, s34, 0xcf800000, s0
	s_cvt_u32_f32 s63, s34
	s_delay_alu instid0(SALU_CYCLE_2) | instskip(NEXT) | instid1(SALU_CYCLE_3)
	s_cvt_u32_f32 s62, s0
	s_mul_u64 s[66:67], s[64:65], s[62:63]
	s_delay_alu instid0(SALU_CYCLE_1)
	s_mul_hi_u32 s69, s62, s67
	s_mul_i32 s68, s62, s67
	s_mul_hi_u32 s34, s62, s66
	s_mul_i32 s55, s63, s66
	s_add_nc_u64 s[68:69], s[34:35], s[68:69]
	s_mul_hi_u32 s0, s63, s66
	s_mul_hi_u32 s59, s63, s67
	s_add_co_u32 s34, s68, s55
	s_add_co_ci_u32 s34, s69, s0
	s_mul_i32 s66, s63, s67
	s_add_co_ci_u32 s67, s59, 0
	s_delay_alu instid0(SALU_CYCLE_1) | instskip(NEXT) | instid1(SALU_CYCLE_1)
	s_add_nc_u64 s[66:67], s[34:35], s[66:67]
	s_add_co_u32 s62, s62, s66
	s_cselect_b32 s0, -1, 0
	s_delay_alu instid0(SALU_CYCLE_1) | instskip(SKIP_1) | instid1(SALU_CYCLE_1)
	s_cmp_lg_u32 s0, 0
	s_add_co_ci_u32 s63, s63, s67
	s_mul_u64 s[64:65], s[64:65], s[62:63]
	s_delay_alu instid0(SALU_CYCLE_1)
	s_mul_hi_u32 s67, s62, s65
	s_mul_i32 s66, s62, s65
	s_mul_hi_u32 s34, s62, s64
	s_mul_i32 s55, s63, s64
	s_add_nc_u64 s[66:67], s[34:35], s[66:67]
	s_mul_hi_u32 s0, s63, s64
	s_mul_hi_u32 s59, s63, s65
	s_add_co_u32 s34, s66, s55
	s_add_co_ci_u32 s34, s67, s0
	s_mul_i32 s64, s63, s65
	s_add_co_ci_u32 s65, s59, 0
	s_delay_alu instid0(SALU_CYCLE_1) | instskip(NEXT) | instid1(SALU_CYCLE_1)
	s_add_nc_u64 s[64:65], s[34:35], s[64:65]
	s_add_co_u32 s0, s62, s64
	s_cselect_b32 s34, -1, 0
	v_nop
	v_mul_hi_u32 v22, v12, s0
	s_cmp_lg_u32 s34, 0
	s_add_co_ci_u32 s34, s63, s65
	s_and_b64 s[62:63], s[0:1], s[50:51]
	v_mul_u64_e32 v[14:15], s[34:35], v[12:13]
	v_mul_u64_e32 v[8:9], s[62:63], v[18:19]
	;; [unrolled: 1-line block ×3, first 2 shown]
	s_delay_alu instid0(VALU_DEP_3) | instskip(NEXT) | instid1(VALU_DEP_1)
	v_add_nc_u64_e32 v[14:15], v[22:23], v[14:15]
	v_add_co_u32 v3, vcc_lo, v14, v8
	s_delay_alu instid0(VALU_DEP_2) | instskip(NEXT) | instid1(VALU_DEP_4)
	v_add_co_ci_u32_e32 v22, vcc_lo, v15, v9, vcc_lo
	v_add_co_ci_u32_e32 v21, vcc_lo, 0, v21, vcc_lo
	s_delay_alu instid0(VALU_DEP_1) | instskip(NEXT) | instid1(VALU_DEP_1)
	v_add_nc_u64_e32 v[8:9], v[22:23], v[20:21]
	v_mul_u64_e32 v[14:15], s[56:57], v[8:9]
	s_delay_alu instid0(VALU_DEP_1) | instskip(NEXT) | instid1(VALU_DEP_2)
	v_sub_nc_u32_e32 v3, v18, v15
	v_sub_co_u32 v11, vcc_lo, v12, v14
	s_delay_alu instid0(VALU_DEP_1) | instskip(NEXT) | instid1(VALU_DEP_3)
	v_sub_co_ci_u32_e64 v17, null, v18, v15, vcc_lo
	v_subrev_co_ci_u32_e64 v3, null, s57, v3, vcc_lo
	s_delay_alu instid0(VALU_DEP_3) | instskip(SKIP_1) | instid1(VALU_DEP_3)
	v_sub_co_u32 v12, s0, v11, s56
	v_add_nc_u64_e32 v[14:15], 1, v[8:9]
	v_subrev_co_ci_u32_e64 v3, null, 0, v3, s0
	s_delay_alu instid0(VALU_DEP_3) | instskip(SKIP_1) | instid1(VALU_DEP_3)
	v_cmp_le_u32_e32 vcc_lo, s56, v12
	v_cndmask_b32_e64 v12, 0, -1, vcc_lo
	v_cmp_le_u32_e32 vcc_lo, s57, v3
	v_cndmask_b32_e64 v13, 0, -1, vcc_lo
	;; [unrolled: 2-line block ×4, first 2 shown]
	v_cmp_eq_u32_e32 vcc_lo, s57, v3
	v_cndmask_b32_e32 v3, v13, v12, vcc_lo
	v_cmp_eq_u32_e32 vcc_lo, s57, v17
	v_add_nc_u64_e32 v[12:13], 2, v[8:9]
	v_cndmask_b32_e32 v11, v18, v11, vcc_lo
	s_delay_alu instid0(VALU_DEP_4) | instskip(NEXT) | instid1(VALU_DEP_2)
	v_cmp_ne_u32_e32 vcc_lo, 0, v3
	v_cmp_ne_u32_e64 s0, 0, v11
	s_delay_alu instid0(VALU_DEP_4) | instskip(NEXT) | instid1(VALU_DEP_1)
	v_dual_cndmask_b32 v3, v15, v13, vcc_lo :: v_dual_cndmask_b32 v11, v14, v12, vcc_lo
	v_dual_cndmask_b32 v3, v9, v3, s0 :: v_dual_bitop2_b32 v12, s54, v10 bitop3:0x14
	s_delay_alu instid0(VALU_DEP_1) | instskip(NEXT) | instid1(VALU_DEP_2)
	v_mov_b32_e32 v13, v12
	v_dual_cndmask_b32 v8, v8, v11, s0 :: v_dual_bitop2_b32 v9, v3, v12 bitop3:0x14
	s_delay_alu instid0(VALU_DEP_1) | instskip(NEXT) | instid1(VALU_DEP_1)
	v_xor_b32_e32 v8, v8, v12
	v_sub_nc_u64_e32 v[8:9], v[8:9], v[12:13]
.LBB17_5:                               ;   in Loop: Header=BB17_3 Depth=1
	s_and_not1_saveexec_b32 s0, s58
	s_cbranch_execz .LBB17_7
; %bb.6:                                ;   in Loop: Header=BB17_3 Depth=1
	s_sub_co_i32 s34, 0, s28
	s_delay_alu instid0(SALU_CYCLE_1) | instskip(NEXT) | instid1(VALU_DEP_1)
	v_mul_lo_u32 v3, s34, v16
	v_mul_hi_u32 v3, v16, v3
	s_delay_alu instid0(VALU_DEP_1) | instskip(NEXT) | instid1(VALU_DEP_1)
	v_add_nc_u32_e32 v3, v16, v3
	v_mul_hi_u32 v3, v6, v3
	s_delay_alu instid0(VALU_DEP_1) | instskip(NEXT) | instid1(VALU_DEP_1)
	v_mul_lo_u32 v8, v3, s28
	v_dual_add_nc_u32 v9, 1, v3 :: v_dual_sub_nc_u32 v8, v6, v8
	s_delay_alu instid0(VALU_DEP_1) | instskip(SKIP_1) | instid1(VALU_DEP_2)
	v_subrev_nc_u32_e32 v11, s28, v8
	v_cmp_le_u32_e32 vcc_lo, s28, v8
	v_dual_cndmask_b32 v8, v8, v11 :: v_dual_cndmask_b32 v3, v3, v9
	s_delay_alu instid0(VALU_DEP_1) | instskip(NEXT) | instid1(VALU_DEP_2)
	v_cmp_le_u32_e32 vcc_lo, s28, v8
	v_add_nc_u32_e32 v9, 1, v3
	s_delay_alu instid0(VALU_DEP_1)
	v_dual_cndmask_b32 v8, v3, v9 :: v_dual_mov_b32 v9, v2
.LBB17_7:                               ;   in Loop: Header=BB17_3 Depth=1
	s_or_b32 exec_lo, exec_lo, s0
	s_delay_alu instid0(VALU_DEP_1) | instskip(SKIP_1) | instid1(VALU_DEP_1)
	v_or_b32_e32 v3, s31, v9
                                        ; implicit-def: $vgpr12_vgpr13
	s_mov_b32 s0, exec_lo
	v_cmpx_ne_u64_e32 0, v[2:3]
	s_xor_b32 s55, exec_lo, s0
	s_cbranch_execz .LBB17_9
; %bb.8:                                ;   in Loop: Header=BB17_3 Depth=1
	s_ashr_i32 s56, s31, 31
	v_dual_mov_b32 v19, v2 :: v_dual_ashrrev_i32 v12, 31, v9
	s_mov_b32 s57, s56
	v_mov_b32_e32 v27, v2
	s_add_nc_u64 s[58:59], s[30:31], s[56:57]
	s_delay_alu instid0(VALU_DEP_2) | instskip(SKIP_1) | instid1(SALU_CYCLE_1)
	v_mov_b32_e32 v13, v12
	s_xor_b64 s[56:57], s[58:59], s[56:57]
	s_cvt_f32_u32 s0, s56
	s_cvt_f32_u32 s34, s57
	s_sub_nc_u64 s[62:63], 0, s[56:57]
	v_add_nc_u64_e32 v[14:15], v[8:9], v[12:13]
	v_mov_b32_e32 v23, v2
	s_fmamk_f32 s0, s34, 0x4f800000, s0
	s_delay_alu instid0(SALU_CYCLE_3) | instskip(NEXT) | instid1(VALU_DEP_2)
	v_s_rcp_f32 s0, s0
	v_xor_b32_e32 v18, v14, v12
	s_delay_alu instid0(VALU_DEP_3) | instskip(NEXT) | instid1(TRANS32_DEP_1)
	v_xor_b32_e32 v22, v15, v12
	s_mul_f32 s0, s0, 0x5f7ffffc
	s_delay_alu instid0(SALU_CYCLE_3) | instskip(NEXT) | instid1(SALU_CYCLE_3)
	s_mul_f32 s34, s0, 0x2f800000
	s_trunc_f32 s34, s34
	s_delay_alu instid0(SALU_CYCLE_3) | instskip(SKIP_1) | instid1(SALU_CYCLE_2)
	s_fmamk_f32 s0, s34, 0xcf800000, s0
	s_cvt_u32_f32 s59, s34
	s_cvt_u32_f32 s58, s0
	s_delay_alu instid0(SALU_CYCLE_3) | instskip(NEXT) | instid1(SALU_CYCLE_1)
	s_mul_u64 s[64:65], s[62:63], s[58:59]
	s_mul_hi_u32 s67, s58, s65
	s_mul_i32 s66, s58, s65
	s_mul_hi_u32 s34, s58, s64
	s_mul_i32 s68, s59, s64
	s_add_nc_u64 s[66:67], s[34:35], s[66:67]
	s_mul_hi_u32 s0, s59, s64
	s_mul_hi_u32 s69, s59, s65
	s_add_co_u32 s34, s66, s68
	s_add_co_ci_u32 s34, s67, s0
	s_mul_i32 s64, s59, s65
	s_add_co_ci_u32 s65, s69, 0
	s_delay_alu instid0(SALU_CYCLE_1) | instskip(NEXT) | instid1(SALU_CYCLE_1)
	s_add_nc_u64 s[64:65], s[34:35], s[64:65]
	s_add_co_u32 s58, s58, s64
	s_cselect_b32 s0, -1, 0
	s_delay_alu instid0(SALU_CYCLE_1) | instskip(SKIP_1) | instid1(SALU_CYCLE_1)
	s_cmp_lg_u32 s0, 0
	s_add_co_ci_u32 s59, s59, s65
	s_mul_u64 s[62:63], s[62:63], s[58:59]
	s_delay_alu instid0(SALU_CYCLE_1)
	s_mul_hi_u32 s65, s58, s63
	s_mul_i32 s64, s58, s63
	s_mul_hi_u32 s34, s58, s62
	s_mul_i32 s66, s59, s62
	s_add_nc_u64 s[64:65], s[34:35], s[64:65]
	s_mul_hi_u32 s0, s59, s62
	s_mul_hi_u32 s67, s59, s63
	s_add_co_u32 s34, s64, s66
	s_add_co_ci_u32 s34, s65, s0
	s_mul_i32 s62, s59, s63
	s_add_co_ci_u32 s63, s67, 0
	s_delay_alu instid0(SALU_CYCLE_1) | instskip(NEXT) | instid1(SALU_CYCLE_1)
	s_add_nc_u64 s[62:63], s[34:35], s[62:63]
	s_add_co_u32 s0, s58, s62
	s_cselect_b32 s34, -1, 0
	v_mul_hi_u32 v26, v18, s0
	s_cmp_lg_u32 s34, 0
	s_add_co_ci_u32 s34, s59, s63
	s_and_b64 s[58:59], s[0:1], s[50:51]
	v_mul_u64_e32 v[20:21], s[34:35], v[18:19]
	v_mul_u64_e32 v[14:15], s[58:59], v[22:23]
	;; [unrolled: 1-line block ×3, first 2 shown]
	s_delay_alu instid0(VALU_DEP_3) | instskip(NEXT) | instid1(VALU_DEP_1)
	v_add_nc_u64_e32 v[20:21], v[26:27], v[20:21]
	v_add_co_u32 v3, vcc_lo, v20, v14
	s_delay_alu instid0(VALU_DEP_2) | instskip(NEXT) | instid1(VALU_DEP_4)
	v_add_co_ci_u32_e32 v26, vcc_lo, v21, v15, vcc_lo
	v_add_co_ci_u32_e32 v25, vcc_lo, 0, v25, vcc_lo
	s_delay_alu instid0(VALU_DEP_1) | instskip(NEXT) | instid1(VALU_DEP_1)
	v_add_nc_u64_e32 v[14:15], v[26:27], v[24:25]
	v_mul_u64_e32 v[14:15], s[56:57], v[14:15]
	s_delay_alu instid0(VALU_DEP_1) | instskip(NEXT) | instid1(VALU_DEP_1)
	v_sub_co_u32 v11, vcc_lo, v18, v14
	v_sub_co_ci_u32_e64 v14, null, v22, v15, vcc_lo
	s_delay_alu instid0(VALU_DEP_2) | instskip(NEXT) | instid1(VALU_DEP_1)
	v_cmp_le_u32_e64 s0, s56, v11
	v_cndmask_b32_e64 v18, 0, -1, s0
	v_sub_nc_u32_e32 v3, v22, v15
	s_delay_alu instid0(VALU_DEP_1) | instskip(SKIP_1) | instid1(VALU_DEP_1)
	v_subrev_co_ci_u32_e64 v3, null, s57, v3, vcc_lo
	v_sub_co_u32 v15, vcc_lo, v11, s56
	v_subrev_co_ci_u32_e64 v17, null, 0, v3, vcc_lo
	s_delay_alu instid0(VALU_DEP_2) | instskip(SKIP_2) | instid1(VALU_DEP_3)
	v_cmp_le_u32_e64 s0, s56, v15
	v_subrev_co_ci_u32_e64 v3, null, s57, v3, vcc_lo
	v_cmp_le_u32_e32 vcc_lo, s57, v14
	v_cndmask_b32_e64 v19, 0, -1, s0
	v_cmp_le_u32_e64 s0, s57, v17
	v_cndmask_b32_e64 v21, 0, -1, vcc_lo
	v_cmp_eq_u32_e32 vcc_lo, s57, v17
	s_delay_alu instid0(VALU_DEP_3) | instskip(SKIP_1) | instid1(VALU_DEP_2)
	v_cndmask_b32_e64 v20, 0, -1, s0
	v_cmp_eq_u32_e64 s0, s57, v14
	v_cndmask_b32_e32 v19, v20, v19, vcc_lo
	v_sub_co_u32 v20, vcc_lo, v15, s56
	s_delay_alu instid0(VALU_DEP_1) | instskip(NEXT) | instid1(VALU_DEP_3)
	v_subrev_co_ci_u32_e64 v3, null, 0, v3, vcc_lo
	v_cmp_ne_u32_e32 vcc_lo, 0, v19
	v_cndmask_b32_e64 v18, v21, v18, s0
	s_delay_alu instid0(VALU_DEP_3) | instskip(NEXT) | instid1(VALU_DEP_2)
	v_dual_cndmask_b32 v3, v17, v3, vcc_lo :: v_dual_cndmask_b32 v15, v15, v20, vcc_lo
	v_cmp_ne_u32_e32 vcc_lo, 0, v18
	s_delay_alu instid0(VALU_DEP_2) | instskip(NEXT) | instid1(VALU_DEP_1)
	v_cndmask_b32_e32 v11, v11, v15, vcc_lo
	v_dual_cndmask_b32 v3, v14, v3, vcc_lo :: v_dual_bitop2_b32 v14, v11, v12 bitop3:0x14
	s_delay_alu instid0(VALU_DEP_1) | instskip(NEXT) | instid1(VALU_DEP_1)
	v_xor_b32_e32 v15, v3, v12
	v_sub_nc_u64_e32 v[12:13], v[14:15], v[12:13]
.LBB17_9:                               ;   in Loop: Header=BB17_3 Depth=1
	s_and_not1_saveexec_b32 s0, s55
	s_cbranch_execz .LBB17_11
; %bb.10:                               ;   in Loop: Header=BB17_3 Depth=1
	v_cvt_f32_u32_e32 v3, s30
	s_sub_co_i32 s34, 0, s30
	v_mov_b32_e32 v13, v2
	s_delay_alu instid0(VALU_DEP_2) | instskip(SKIP_1) | instid1(TRANS32_DEP_1)
	v_rcp_iflag_f32_e32 v3, v3
	v_nop
	v_mul_f32_e32 v3, 0x4f7ffffe, v3
	s_delay_alu instid0(VALU_DEP_1) | instskip(NEXT) | instid1(VALU_DEP_1)
	v_cvt_u32_f32_e32 v3, v3
	v_mul_lo_u32 v11, s34, v3
	s_delay_alu instid0(VALU_DEP_1) | instskip(NEXT) | instid1(VALU_DEP_1)
	v_mul_hi_u32 v11, v3, v11
	v_add_nc_u32_e32 v3, v3, v11
	s_delay_alu instid0(VALU_DEP_1) | instskip(NEXT) | instid1(VALU_DEP_1)
	v_mul_hi_u32 v3, v8, v3
	v_mul_lo_u32 v3, v3, s30
	s_delay_alu instid0(VALU_DEP_1) | instskip(NEXT) | instid1(VALU_DEP_1)
	v_sub_nc_u32_e32 v3, v8, v3
	v_subrev_nc_u32_e32 v11, s30, v3
	v_cmp_le_u32_e32 vcc_lo, s30, v3
	s_delay_alu instid0(VALU_DEP_2) | instskip(NEXT) | instid1(VALU_DEP_1)
	v_cndmask_b32_e32 v3, v3, v11, vcc_lo
	v_subrev_nc_u32_e32 v11, s30, v3
	v_cmp_le_u32_e32 vcc_lo, s30, v3
	s_delay_alu instid0(VALU_DEP_2)
	v_cndmask_b32_e32 v12, v3, v11, vcc_lo
.LBB17_11:                              ;   in Loop: Header=BB17_3 Depth=1
	s_or_b32 exec_lo, exec_lo, s0
	v_or_b32_e32 v3, s53, v7
                                        ; implicit-def: $vgpr14_vgpr15
	s_mov_b32 s0, exec_lo
	s_delay_alu instid0(VALU_DEP_1)
	v_cmpx_ne_u64_e32 0, v[2:3]
	s_xor_b32 s55, exec_lo, s0
	s_cbranch_execz .LBB17_13
; %bb.12:                               ;   in Loop: Header=BB17_3 Depth=1
	s_ashr_i32 s56, s53, 31
	v_dual_mov_b32 v11, v10 :: v_dual_mov_b32 v19, v2
	s_mov_b32 s57, s56
	v_mov_b32_e32 v27, v2
	s_add_nc_u64 s[58:59], s[52:53], s[56:57]
	s_delay_alu instid0(VALU_DEP_2)
	v_add_nc_u64_e32 v[14:15], v[6:7], v[10:11]
	s_xor_b64 s[58:59], s[58:59], s[56:57]
	v_mov_b32_e32 v23, v2
	s_cvt_f32_u32 s0, s58
	s_cvt_f32_u32 s34, s59
	s_sub_nc_u64 s[64:65], 0, s[58:59]
	s_delay_alu instid0(VALU_DEP_2) | instskip(NEXT) | instid1(SALU_CYCLE_1)
	v_xor_b32_e32 v18, v14, v10
	s_fmamk_f32 s0, s34, 0x4f800000, s0
	v_xor_b32_e32 v22, v15, v10
	v_xor_b32_e32 v10, s56, v10
	s_delay_alu instid0(SALU_CYCLE_1) | instskip(NEXT) | instid1(TRANS32_DEP_1)
	v_s_rcp_f32 s0, s0
	s_mul_f32 s0, s0, 0x5f7ffffc
	s_delay_alu instid0(SALU_CYCLE_3) | instskip(NEXT) | instid1(SALU_CYCLE_3)
	s_mul_f32 s34, s0, 0x2f800000
	s_trunc_f32 s34, s34
	s_delay_alu instid0(SALU_CYCLE_3) | instskip(SKIP_1) | instid1(SALU_CYCLE_2)
	s_fmamk_f32 s0, s34, 0xcf800000, s0
	s_cvt_u32_f32 s63, s34
	s_cvt_u32_f32 s62, s0
	s_delay_alu instid0(SALU_CYCLE_3) | instskip(NEXT) | instid1(SALU_CYCLE_1)
	s_mul_u64 s[66:67], s[64:65], s[62:63]
	s_mul_hi_u32 s69, s62, s67
	s_mul_i32 s68, s62, s67
	s_mul_hi_u32 s34, s62, s66
	s_mul_i32 s57, s63, s66
	s_add_nc_u64 s[68:69], s[34:35], s[68:69]
	s_mul_hi_u32 s0, s63, s66
	s_mul_hi_u32 s70, s63, s67
	s_add_co_u32 s34, s68, s57
	s_add_co_ci_u32 s34, s69, s0
	s_mul_i32 s66, s63, s67
	s_add_co_ci_u32 s67, s70, 0
	s_delay_alu instid0(SALU_CYCLE_1) | instskip(NEXT) | instid1(SALU_CYCLE_1)
	s_add_nc_u64 s[66:67], s[34:35], s[66:67]
	s_add_co_u32 s62, s62, s66
	s_cselect_b32 s0, -1, 0
	s_delay_alu instid0(SALU_CYCLE_1) | instskip(SKIP_1) | instid1(SALU_CYCLE_1)
	s_cmp_lg_u32 s0, 0
	s_add_co_ci_u32 s63, s63, s67
	s_mul_u64 s[64:65], s[64:65], s[62:63]
	s_delay_alu instid0(SALU_CYCLE_1)
	s_mul_hi_u32 s67, s62, s65
	s_mul_i32 s66, s62, s65
	s_mul_hi_u32 s34, s62, s64
	s_mul_i32 s57, s63, s64
	s_add_nc_u64 s[66:67], s[34:35], s[66:67]
	s_mul_hi_u32 s0, s63, s64
	s_mul_hi_u32 s68, s63, s65
	s_add_co_u32 s34, s66, s57
	s_add_co_ci_u32 s34, s67, s0
	s_mul_i32 s64, s63, s65
	s_add_co_ci_u32 s65, s68, 0
	s_delay_alu instid0(SALU_CYCLE_1) | instskip(NEXT) | instid1(SALU_CYCLE_1)
	s_add_nc_u64 s[64:65], s[34:35], s[64:65]
	s_add_co_u32 s0, s62, s64
	s_cselect_b32 s34, -1, 0
	v_nop
	v_mul_hi_u32 v26, v18, s0
	s_cmp_lg_u32 s34, 0
	s_add_co_ci_u32 s34, s63, s65
	s_and_b64 s[62:63], s[0:1], s[50:51]
	v_mul_u64_e32 v[20:21], s[34:35], v[18:19]
	v_mul_u64_e32 v[14:15], s[62:63], v[22:23]
	;; [unrolled: 1-line block ×3, first 2 shown]
	s_delay_alu instid0(VALU_DEP_3) | instskip(NEXT) | instid1(VALU_DEP_1)
	v_add_nc_u64_e32 v[20:21], v[26:27], v[20:21]
	v_add_co_u32 v3, vcc_lo, v20, v14
	s_delay_alu instid0(VALU_DEP_2) | instskip(NEXT) | instid1(VALU_DEP_4)
	v_add_co_ci_u32_e32 v26, vcc_lo, v21, v15, vcc_lo
	v_add_co_ci_u32_e32 v25, vcc_lo, 0, v25, vcc_lo
	s_delay_alu instid0(VALU_DEP_1) | instskip(NEXT) | instid1(VALU_DEP_1)
	v_add_nc_u64_e32 v[14:15], v[26:27], v[24:25]
	v_mul_u64_e32 v[20:21], s[58:59], v[14:15]
	s_delay_alu instid0(VALU_DEP_1) | instskip(NEXT) | instid1(VALU_DEP_2)
	v_sub_nc_u32_e32 v3, v22, v21
	v_sub_co_u32 v11, vcc_lo, v18, v20
	s_delay_alu instid0(VALU_DEP_1) | instskip(NEXT) | instid1(VALU_DEP_3)
	v_sub_co_ci_u32_e64 v22, null, v22, v21, vcc_lo
	v_subrev_co_ci_u32_e64 v3, null, s59, v3, vcc_lo
	s_delay_alu instid0(VALU_DEP_3) | instskip(SKIP_1) | instid1(VALU_DEP_3)
	v_sub_co_u32 v17, s0, v11, s58
	v_add_nc_u64_e32 v[20:21], 1, v[14:15]
	v_subrev_co_ci_u32_e64 v3, null, 0, v3, s0
	s_delay_alu instid0(VALU_DEP_3) | instskip(SKIP_1) | instid1(VALU_DEP_3)
	v_cmp_le_u32_e32 vcc_lo, s58, v17
	v_cndmask_b32_e64 v17, 0, -1, vcc_lo
	v_cmp_le_u32_e32 vcc_lo, s59, v3
	v_cndmask_b32_e64 v18, 0, -1, vcc_lo
	;; [unrolled: 2-line block ×4, first 2 shown]
	v_cmp_eq_u32_e32 vcc_lo, s59, v3
	v_cndmask_b32_e32 v3, v18, v17, vcc_lo
	v_cmp_eq_u32_e32 vcc_lo, s59, v22
	v_add_nc_u64_e32 v[18:19], 2, v[14:15]
	v_cndmask_b32_e32 v11, v23, v11, vcc_lo
	s_delay_alu instid0(VALU_DEP_4) | instskip(NEXT) | instid1(VALU_DEP_2)
	v_cmp_ne_u32_e32 vcc_lo, 0, v3
	v_cmp_ne_u32_e64 s0, 0, v11
	s_delay_alu instid0(VALU_DEP_4) | instskip(NEXT) | instid1(VALU_DEP_1)
	v_dual_cndmask_b32 v3, v21, v19, vcc_lo :: v_dual_cndmask_b32 v11, v20, v18, vcc_lo
	v_cndmask_b32_e64 v3, v15, v3, s0
	s_delay_alu instid0(VALU_DEP_2) | instskip(NEXT) | instid1(VALU_DEP_2)
	v_cndmask_b32_e64 v14, v14, v11, s0
	v_dual_mov_b32 v11, v10 :: v_dual_bitop2_b32 v15, v3, v10 bitop3:0x14
	s_delay_alu instid0(VALU_DEP_2) | instskip(NEXT) | instid1(VALU_DEP_1)
	v_xor_b32_e32 v14, v14, v10
	v_sub_nc_u64_e32 v[14:15], v[14:15], v[10:11]
.LBB17_13:                              ;   in Loop: Header=BB17_3 Depth=1
	s_and_not1_saveexec_b32 s0, s55
	s_cbranch_execz .LBB17_15
; %bb.14:                               ;   in Loop: Header=BB17_3 Depth=1
	v_cvt_f32_u32_e32 v3, s52
	s_sub_co_i32 s34, 0, s52
	v_mov_b32_e32 v15, v2
	s_delay_alu instid0(VALU_DEP_2) | instskip(SKIP_1) | instid1(TRANS32_DEP_1)
	v_rcp_iflag_f32_e32 v3, v3
	v_nop
	v_mul_f32_e32 v3, 0x4f7ffffe, v3
	s_delay_alu instid0(VALU_DEP_1) | instskip(NEXT) | instid1(VALU_DEP_1)
	v_cvt_u32_f32_e32 v3, v3
	v_mul_lo_u32 v10, s34, v3
	s_delay_alu instid0(VALU_DEP_1) | instskip(NEXT) | instid1(VALU_DEP_1)
	v_mul_hi_u32 v10, v3, v10
	v_add_nc_u32_e32 v3, v3, v10
	s_delay_alu instid0(VALU_DEP_1) | instskip(NEXT) | instid1(VALU_DEP_1)
	v_mul_hi_u32 v3, v5, v3
	v_mul_lo_u32 v10, v3, s52
	s_delay_alu instid0(VALU_DEP_1) | instskip(NEXT) | instid1(VALU_DEP_1)
	v_sub_nc_u32_e32 v10, v5, v10
	v_subrev_nc_u32_e32 v14, s52, v10
	v_cmp_le_u32_e32 vcc_lo, s52, v10
	s_delay_alu instid0(VALU_DEP_2) | instskip(NEXT) | instid1(VALU_DEP_1)
	v_dual_cndmask_b32 v10, v10, v14 :: v_dual_add_nc_u32 v11, 1, v3
	v_cndmask_b32_e32 v3, v3, v11, vcc_lo
	s_delay_alu instid0(VALU_DEP_2) | instskip(NEXT) | instid1(VALU_DEP_2)
	v_cmp_le_u32_e32 vcc_lo, s52, v10
	v_add_nc_u32_e32 v11, 1, v3
	s_delay_alu instid0(VALU_DEP_1)
	v_cndmask_b32_e32 v14, v3, v11, vcc_lo
.LBB17_15:                              ;   in Loop: Header=BB17_3 Depth=1
	s_or_b32 exec_lo, exec_lo, s0
	s_delay_alu instid0(VALU_DEP_1) | instskip(SKIP_1) | instid1(VALU_DEP_1)
	v_or_b32_e32 v3, s43, v15
                                        ; implicit-def: $vgpr10_vgpr11
	s_mov_b32 s0, exec_lo
	v_cmpx_ne_u64_e32 0, v[2:3]
	s_xor_b32 s55, exec_lo, s0
	s_cbranch_execz .LBB17_17
; %bb.16:                               ;   in Loop: Header=BB17_3 Depth=1
	s_ashr_i32 s56, s43, 31
	v_dual_mov_b32 v19, v2 :: v_dual_ashrrev_i32 v10, 31, v15
	s_mov_b32 s57, s56
	v_mov_b32_e32 v23, v2
	s_add_nc_u64 s[58:59], s[42:43], s[56:57]
	s_delay_alu instid0(VALU_DEP_2)
	v_mov_b32_e32 v11, v10
	s_xor_b64 s[56:57], s[58:59], s[56:57]
	v_mov_b32_e32 v27, v2
	s_cvt_f32_u32 s0, s56
	s_cvt_f32_u32 s34, s57
	s_sub_nc_u64 s[62:63], 0, s[56:57]
	v_add_nc_u64_e32 v[14:15], v[14:15], v[10:11]
	s_delay_alu instid0(SALU_CYCLE_1) | instskip(NEXT) | instid1(SALU_CYCLE_3)
	s_fmamk_f32 s0, s34, 0x4f800000, s0
	v_s_rcp_f32 s0, s0
	s_delay_alu instid0(VALU_DEP_1) | instskip(NEXT) | instid1(VALU_DEP_2)
	v_xor_b32_e32 v18, v14, v10
	v_xor_b32_e32 v22, v15, v10
	s_delay_alu instid0(TRANS32_DEP_1) | instskip(NEXT) | instid1(SALU_CYCLE_3)
	s_mul_f32 s0, s0, 0x5f7ffffc
	s_mul_f32 s34, s0, 0x2f800000
	s_delay_alu instid0(SALU_CYCLE_3) | instskip(NEXT) | instid1(SALU_CYCLE_3)
	s_trunc_f32 s34, s34
	s_fmamk_f32 s0, s34, 0xcf800000, s0
	s_cvt_u32_f32 s59, s34
	s_delay_alu instid0(SALU_CYCLE_2) | instskip(NEXT) | instid1(SALU_CYCLE_3)
	s_cvt_u32_f32 s58, s0
	s_mul_u64 s[64:65], s[62:63], s[58:59]
	s_delay_alu instid0(SALU_CYCLE_1)
	s_mul_hi_u32 s67, s58, s65
	s_mul_i32 s66, s58, s65
	s_mul_hi_u32 s34, s58, s64
	s_mul_i32 s68, s59, s64
	s_add_nc_u64 s[66:67], s[34:35], s[66:67]
	s_mul_hi_u32 s0, s59, s64
	s_mul_hi_u32 s69, s59, s65
	s_add_co_u32 s34, s66, s68
	s_add_co_ci_u32 s34, s67, s0
	s_mul_i32 s64, s59, s65
	s_add_co_ci_u32 s65, s69, 0
	s_delay_alu instid0(SALU_CYCLE_1) | instskip(NEXT) | instid1(SALU_CYCLE_1)
	s_add_nc_u64 s[64:65], s[34:35], s[64:65]
	s_add_co_u32 s58, s58, s64
	s_cselect_b32 s0, -1, 0
	s_delay_alu instid0(SALU_CYCLE_1) | instskip(SKIP_1) | instid1(SALU_CYCLE_1)
	s_cmp_lg_u32 s0, 0
	s_add_co_ci_u32 s59, s59, s65
	s_mul_u64 s[62:63], s[62:63], s[58:59]
	s_delay_alu instid0(SALU_CYCLE_1)
	s_mul_hi_u32 s65, s58, s63
	s_mul_i32 s64, s58, s63
	s_mul_hi_u32 s34, s58, s62
	s_mul_i32 s66, s59, s62
	s_add_nc_u64 s[64:65], s[34:35], s[64:65]
	s_mul_hi_u32 s0, s59, s62
	s_mul_hi_u32 s67, s59, s63
	s_add_co_u32 s34, s64, s66
	s_add_co_ci_u32 s34, s65, s0
	s_mul_i32 s62, s59, s63
	s_add_co_ci_u32 s63, s67, 0
	s_delay_alu instid0(SALU_CYCLE_1) | instskip(NEXT) | instid1(SALU_CYCLE_1)
	s_add_nc_u64 s[62:63], s[34:35], s[62:63]
	s_add_co_u32 s0, s58, s62
	s_cselect_b32 s34, -1, 0
	v_mul_hi_u32 v26, v18, s0
	s_cmp_lg_u32 s34, 0
	s_add_co_ci_u32 s34, s59, s63
	s_and_b64 s[58:59], s[0:1], s[50:51]
	v_mul_u64_e32 v[20:21], s[34:35], v[18:19]
	v_mul_u64_e32 v[14:15], s[58:59], v[22:23]
	;; [unrolled: 1-line block ×3, first 2 shown]
	s_delay_alu instid0(VALU_DEP_3) | instskip(NEXT) | instid1(VALU_DEP_1)
	v_add_nc_u64_e32 v[20:21], v[26:27], v[20:21]
	v_add_co_u32 v3, vcc_lo, v20, v14
	s_delay_alu instid0(VALU_DEP_2) | instskip(NEXT) | instid1(VALU_DEP_4)
	v_add_co_ci_u32_e32 v26, vcc_lo, v21, v15, vcc_lo
	v_add_co_ci_u32_e32 v25, vcc_lo, 0, v25, vcc_lo
	s_delay_alu instid0(VALU_DEP_1) | instskip(NEXT) | instid1(VALU_DEP_1)
	v_add_nc_u64_e32 v[14:15], v[26:27], v[24:25]
	v_mul_u64_e32 v[14:15], s[56:57], v[14:15]
	s_delay_alu instid0(VALU_DEP_1) | instskip(NEXT) | instid1(VALU_DEP_2)
	v_sub_nc_u32_e32 v3, v22, v15
	v_sub_co_u32 v14, vcc_lo, v18, v14
	s_delay_alu instid0(VALU_DEP_1) | instskip(NEXT) | instid1(VALU_DEP_3)
	v_sub_co_ci_u32_e64 v15, null, v22, v15, vcc_lo
	v_subrev_co_ci_u32_e64 v3, null, s57, v3, vcc_lo
	s_delay_alu instid0(VALU_DEP_3) | instskip(SKIP_1) | instid1(VALU_DEP_3)
	v_sub_co_u32 v17, vcc_lo, v14, s56
	v_cmp_le_u32_e64 s0, s56, v14
	v_subrev_co_ci_u32_e64 v18, null, 0, v3, vcc_lo
	v_subrev_co_ci_u32_e64 v3, null, s57, v3, vcc_lo
	s_delay_alu instid0(VALU_DEP_3) | instskip(SKIP_2) | instid1(VALU_DEP_2)
	v_cndmask_b32_e64 v19, 0, -1, s0
	v_cmp_le_u32_e64 s0, s56, v17
	v_cmp_le_u32_e32 vcc_lo, s57, v15
	v_cndmask_b32_e64 v20, 0, -1, s0
	v_cmp_le_u32_e64 s0, s57, v18
	v_cndmask_b32_e64 v22, 0, -1, vcc_lo
	v_cmp_eq_u32_e32 vcc_lo, s57, v18
	s_delay_alu instid0(VALU_DEP_3) | instskip(SKIP_1) | instid1(VALU_DEP_2)
	v_cndmask_b32_e64 v21, 0, -1, s0
	v_cmp_eq_u32_e64 s0, s57, v15
	v_cndmask_b32_e32 v20, v21, v20, vcc_lo
	v_sub_co_u32 v21, vcc_lo, v17, s56
	s_delay_alu instid0(VALU_DEP_1) | instskip(NEXT) | instid1(VALU_DEP_3)
	v_subrev_co_ci_u32_e64 v3, null, 0, v3, vcc_lo
	v_cmp_ne_u32_e32 vcc_lo, 0, v20
	v_cndmask_b32_e64 v19, v22, v19, s0
	s_delay_alu instid0(VALU_DEP_3) | instskip(NEXT) | instid1(VALU_DEP_2)
	v_dual_cndmask_b32 v3, v18, v3, vcc_lo :: v_dual_cndmask_b32 v17, v17, v21, vcc_lo
	v_cmp_ne_u32_e32 vcc_lo, 0, v19
	s_delay_alu instid0(VALU_DEP_2) | instskip(NEXT) | instid1(VALU_DEP_1)
	v_dual_cndmask_b32 v3, v15, v3 :: v_dual_cndmask_b32 v14, v14, v17
	v_xor_b32_e32 v15, v3, v10
	s_delay_alu instid0(VALU_DEP_2) | instskip(NEXT) | instid1(VALU_DEP_1)
	v_xor_b32_e32 v14, v14, v10
	v_sub_nc_u64_e32 v[10:11], v[14:15], v[10:11]
                                        ; implicit-def: $vgpr14_vgpr15
.LBB17_17:                              ;   in Loop: Header=BB17_3 Depth=1
	s_and_not1_saveexec_b32 s0, s55
	s_cbranch_execz .LBB17_19
; %bb.18:                               ;   in Loop: Header=BB17_3 Depth=1
	v_cvt_f32_u32_e32 v3, s42
	s_sub_co_i32 s34, 0, s42
	v_mov_b32_e32 v11, v2
	s_delay_alu instid0(VALU_DEP_2) | instskip(SKIP_1) | instid1(TRANS32_DEP_1)
	v_rcp_iflag_f32_e32 v3, v3
	v_nop
	v_mul_f32_e32 v3, 0x4f7ffffe, v3
	s_delay_alu instid0(VALU_DEP_1) | instskip(NEXT) | instid1(VALU_DEP_1)
	v_cvt_u32_f32_e32 v3, v3
	v_mul_lo_u32 v10, s34, v3
	s_delay_alu instid0(VALU_DEP_1) | instskip(NEXT) | instid1(VALU_DEP_1)
	v_mul_hi_u32 v10, v3, v10
	v_add_nc_u32_e32 v3, v3, v10
	s_delay_alu instid0(VALU_DEP_1) | instskip(NEXT) | instid1(VALU_DEP_1)
	v_mul_hi_u32 v3, v14, v3
	v_mul_lo_u32 v3, v3, s42
	s_delay_alu instid0(VALU_DEP_1) | instskip(NEXT) | instid1(VALU_DEP_1)
	v_sub_nc_u32_e32 v3, v14, v3
	v_subrev_nc_u32_e32 v10, s42, v3
	v_cmp_le_u32_e32 vcc_lo, s42, v3
	s_delay_alu instid0(VALU_DEP_2) | instskip(NEXT) | instid1(VALU_DEP_1)
	v_cndmask_b32_e32 v3, v3, v10, vcc_lo
	v_subrev_nc_u32_e32 v10, s42, v3
	v_cmp_le_u32_e32 vcc_lo, s42, v3
	s_delay_alu instid0(VALU_DEP_2)
	v_cndmask_b32_e32 v10, v3, v10, vcc_lo
.LBB17_19:                              ;   in Loop: Header=BB17_3 Depth=1
	s_or_b32 exec_lo, exec_lo, s0
	v_mul_u64_e32 v[8:9], s[28:29], v[8:9]
	v_mul_u64_e32 v[14:15], s[6:7], v[12:13]
	s_delay_alu instid0(VALU_DEP_3) | instskip(SKIP_3) | instid1(VALU_DEP_3)
	v_mul_u64_e32 v[18:19], s[8:9], v[10:11]
	s_mov_b32 s34, -1
	s_mov_b32 s56, -1
	s_mov_b32 s55, exec_lo
	v_sub_nc_u64_e32 v[6:7], v[6:7], v[8:9]
	s_delay_alu instid0(VALU_DEP_1) | instskip(NEXT) | instid1(VALU_DEP_1)
	v_mul_u64_e32 v[8:9], s[4:5], v[6:7]
	v_lshl_add_u64 v[8:9], v[8:9], 3, s[40:41]
	s_delay_alu instid0(VALU_DEP_1) | instskip(NEXT) | instid1(VALU_DEP_1)
	v_lshl_add_u64 v[8:9], v[14:15], 3, v[8:9]
	v_lshl_add_u64 v[8:9], v[18:19], 3, v[8:9]
	global_load_b64 v[8:9], v[8:9], off
	s_wait_loadcnt 0x0
	s_wait_xcnt 0x0
	v_cmpx_ne_u64_e64 s[38:39], v[8:9]
	s_cbranch_execz .LBB17_26
; %bb.20:                               ;   in Loop: Header=BB17_3 Depth=1
	v_cmp_lt_i64_e32 vcc_lo, -1, v[8:9]
	v_cmp_gt_i64_e64 s0, s[44:45], v[8:9]
	s_mov_b32 s56, 0
	s_and_b32 s57, vcc_lo, s0
	s_delay_alu instid0(SALU_CYCLE_1)
	s_and_saveexec_b32 s0, s57
	s_cbranch_execz .LBB17_25
; %bb.21:                               ;   in Loop: Header=BB17_3 Depth=1
	s_and_not1_b32 vcc_lo, exec_lo, s1
	s_cbranch_vccnz .LBB17_23
; %bb.22:                               ;   in Loop: Header=BB17_3 Depth=1
	v_lshl_add_u64 v[14:15], v[8:9], 2, s[36:37]
	global_load_b32 v3, v[14:15], off
	s_branch .LBB17_24
.LBB17_23:                              ;   in Loop: Header=BB17_3 Depth=1
	v_mov_b32_e32 v3, 1.0
.LBB17_24:                              ;   in Loop: Header=BB17_3 Depth=1
	s_wait_xcnt 0x0
	v_mul_u64_e32 v[14:15], s[12:13], v[6:7]
	v_mul_u64_e32 v[18:19], s[14:15], v[12:13]
	;; [unrolled: 1-line block ×7, first 2 shown]
	s_mov_b32 s56, exec_lo
	v_lshl_add_u64 v[14:15], v[14:15], 2, s[10:11]
	v_lshl_add_u64 v[6:7], v[6:7], 2, s[18:19]
	s_delay_alu instid0(VALU_DEP_2) | instskip(NEXT) | instid1(VALU_DEP_2)
	v_lshl_add_u64 v[14:15], v[18:19], 2, v[14:15]
	v_lshl_add_u64 v[6:7], v[8:9], 2, v[6:7]
	s_delay_alu instid0(VALU_DEP_2) | instskip(NEXT) | instid1(VALU_DEP_2)
	v_lshl_add_u64 v[14:15], v[20:21], 2, v[14:15]
	v_lshl_add_u64 v[6:7], v[12:13], 2, v[6:7]
	global_load_b32 v14, v[14:15], off
	v_lshl_add_u64 v[6:7], v[10:11], 2, v[6:7]
	s_wait_loadcnt 0x0
	v_mul_f32_e64 v3, v14, -v3
	global_store_b32 v[6:7], v3, off
.LBB17_25:                              ;   in Loop: Header=BB17_3 Depth=1
	s_wait_xcnt 0x0
	s_or_b32 exec_lo, exec_lo, s0
	s_delay_alu instid0(SALU_CYCLE_1)
	s_or_not1_b32 s56, s56, exec_lo
.LBB17_26:                              ;   in Loop: Header=BB17_3 Depth=1
	s_or_b32 exec_lo, exec_lo, s55
	s_delay_alu instid0(SALU_CYCLE_1)
	s_or_b32 s61, s61, exec_lo
	s_and_saveexec_b32 s0, s56
	s_cbranch_execz .LBB17_2
; %bb.27:                               ;   in Loop: Header=BB17_3 Depth=1
	v_add_nc_u64_e32 v[0:1], s[46:47], v[0:1]
	v_add_nc_u64_e32 v[4:5], s[48:49], v[4:5]
	s_and_not1_b32 s61, s61, exec_lo
	s_delay_alu instid0(VALU_DEP_2)
	v_cmp_le_i64_e32 vcc_lo, s[2:3], v[0:1]
	s_or_not1_b32 s34, vcc_lo, exec_lo
	s_branch .LBB17_2
.LBB17_28:
	s_or_b32 exec_lo, exec_lo, s33
	s_and_saveexec_b32 s0, s60
	s_delay_alu instid0(SALU_CYCLE_1)
	s_xor_b32 s0, exec_lo, s0
	s_cbranch_execnz .LBB17_30
.LBB17_29:
	s_endpgm
.LBB17_30:
	s_trap 2
	; divergent unreachable
	s_endpgm
	.section	.rodata,"a",@progbits
	.p2align	6, 0x0
	.amdhsa_kernel _ZN2at6native12_GLOBAL__N_136nll_loss2d_backward_no_reduce_kernelIfEEvlN5torch10headeronly6detail27GenericPackedTensorAccessorINS5_14TensorAccessorIN3c108ArrayRefIlEElLm2ENS4_16DefaultPtrTraitsElEENS_6detail16IndexBoundsCheckILm3ElEElLm3ESB_lEENS6_INS7_ISA_T_Lm2ESB_lEESF_SH_Lm3ESB_lEENS6_INS7_ISA_SH_Lm3ESB_lEENSE_ILm4ElEESH_Lm4ESB_lEEPKSH_l
		.amdhsa_group_segment_fixed_size 0
		.amdhsa_private_segment_fixed_size 0
		.amdhsa_kernarg_size 464
		.amdhsa_user_sgpr_count 2
		.amdhsa_user_sgpr_dispatch_ptr 0
		.amdhsa_user_sgpr_queue_ptr 0
		.amdhsa_user_sgpr_kernarg_segment_ptr 1
		.amdhsa_user_sgpr_dispatch_id 0
		.amdhsa_user_sgpr_kernarg_preload_length 0
		.amdhsa_user_sgpr_kernarg_preload_offset 0
		.amdhsa_user_sgpr_private_segment_size 0
		.amdhsa_wavefront_size32 1
		.amdhsa_uses_dynamic_stack 0
		.amdhsa_enable_private_segment 0
		.amdhsa_system_sgpr_workgroup_id_x 1
		.amdhsa_system_sgpr_workgroup_id_y 0
		.amdhsa_system_sgpr_workgroup_id_z 0
		.amdhsa_system_sgpr_workgroup_info 0
		.amdhsa_system_vgpr_workitem_id 0
		.amdhsa_next_free_vgpr 28
		.amdhsa_next_free_sgpr 71
		.amdhsa_named_barrier_count 0
		.amdhsa_reserve_vcc 1
		.amdhsa_float_round_mode_32 0
		.amdhsa_float_round_mode_16_64 0
		.amdhsa_float_denorm_mode_32 3
		.amdhsa_float_denorm_mode_16_64 3
		.amdhsa_fp16_overflow 0
		.amdhsa_memory_ordered 1
		.amdhsa_forward_progress 1
		.amdhsa_inst_pref_size 29
		.amdhsa_round_robin_scheduling 0
		.amdhsa_exception_fp_ieee_invalid_op 0
		.amdhsa_exception_fp_denorm_src 0
		.amdhsa_exception_fp_ieee_div_zero 0
		.amdhsa_exception_fp_ieee_overflow 0
		.amdhsa_exception_fp_ieee_underflow 0
		.amdhsa_exception_fp_ieee_inexact 0
		.amdhsa_exception_int_div_zero 0
	.end_amdhsa_kernel
	.section	.text._ZN2at6native12_GLOBAL__N_136nll_loss2d_backward_no_reduce_kernelIfEEvlN5torch10headeronly6detail27GenericPackedTensorAccessorINS5_14TensorAccessorIN3c108ArrayRefIlEElLm2ENS4_16DefaultPtrTraitsElEENS_6detail16IndexBoundsCheckILm3ElEElLm3ESB_lEENS6_INS7_ISA_T_Lm2ESB_lEESF_SH_Lm3ESB_lEENS6_INS7_ISA_SH_Lm3ESB_lEENSE_ILm4ElEESH_Lm4ESB_lEEPKSH_l,"axG",@progbits,_ZN2at6native12_GLOBAL__N_136nll_loss2d_backward_no_reduce_kernelIfEEvlN5torch10headeronly6detail27GenericPackedTensorAccessorINS5_14TensorAccessorIN3c108ArrayRefIlEElLm2ENS4_16DefaultPtrTraitsElEENS_6detail16IndexBoundsCheckILm3ElEElLm3ESB_lEENS6_INS7_ISA_T_Lm2ESB_lEESF_SH_Lm3ESB_lEENS6_INS7_ISA_SH_Lm3ESB_lEENSE_ILm4ElEESH_Lm4ESB_lEEPKSH_l,comdat
.Lfunc_end17:
	.size	_ZN2at6native12_GLOBAL__N_136nll_loss2d_backward_no_reduce_kernelIfEEvlN5torch10headeronly6detail27GenericPackedTensorAccessorINS5_14TensorAccessorIN3c108ArrayRefIlEElLm2ENS4_16DefaultPtrTraitsElEENS_6detail16IndexBoundsCheckILm3ElEElLm3ESB_lEENS6_INS7_ISA_T_Lm2ESB_lEESF_SH_Lm3ESB_lEENS6_INS7_ISA_SH_Lm3ESB_lEENSE_ILm4ElEESH_Lm4ESB_lEEPKSH_l, .Lfunc_end17-_ZN2at6native12_GLOBAL__N_136nll_loss2d_backward_no_reduce_kernelIfEEvlN5torch10headeronly6detail27GenericPackedTensorAccessorINS5_14TensorAccessorIN3c108ArrayRefIlEElLm2ENS4_16DefaultPtrTraitsElEENS_6detail16IndexBoundsCheckILm3ElEElLm3ESB_lEENS6_INS7_ISA_T_Lm2ESB_lEESF_SH_Lm3ESB_lEENS6_INS7_ISA_SH_Lm3ESB_lEENSE_ILm4ElEESH_Lm4ESB_lEEPKSH_l
                                        ; -- End function
	.set _ZN2at6native12_GLOBAL__N_136nll_loss2d_backward_no_reduce_kernelIfEEvlN5torch10headeronly6detail27GenericPackedTensorAccessorINS5_14TensorAccessorIN3c108ArrayRefIlEElLm2ENS4_16DefaultPtrTraitsElEENS_6detail16IndexBoundsCheckILm3ElEElLm3ESB_lEENS6_INS7_ISA_T_Lm2ESB_lEESF_SH_Lm3ESB_lEENS6_INS7_ISA_SH_Lm3ESB_lEENSE_ILm4ElEESH_Lm4ESB_lEEPKSH_l.num_vgpr, 28
	.set _ZN2at6native12_GLOBAL__N_136nll_loss2d_backward_no_reduce_kernelIfEEvlN5torch10headeronly6detail27GenericPackedTensorAccessorINS5_14TensorAccessorIN3c108ArrayRefIlEElLm2ENS4_16DefaultPtrTraitsElEENS_6detail16IndexBoundsCheckILm3ElEElLm3ESB_lEENS6_INS7_ISA_T_Lm2ESB_lEESF_SH_Lm3ESB_lEENS6_INS7_ISA_SH_Lm3ESB_lEENSE_ILm4ElEESH_Lm4ESB_lEEPKSH_l.num_agpr, 0
	.set _ZN2at6native12_GLOBAL__N_136nll_loss2d_backward_no_reduce_kernelIfEEvlN5torch10headeronly6detail27GenericPackedTensorAccessorINS5_14TensorAccessorIN3c108ArrayRefIlEElLm2ENS4_16DefaultPtrTraitsElEENS_6detail16IndexBoundsCheckILm3ElEElLm3ESB_lEENS6_INS7_ISA_T_Lm2ESB_lEESF_SH_Lm3ESB_lEENS6_INS7_ISA_SH_Lm3ESB_lEENSE_ILm4ElEESH_Lm4ESB_lEEPKSH_l.numbered_sgpr, 71
	.set _ZN2at6native12_GLOBAL__N_136nll_loss2d_backward_no_reduce_kernelIfEEvlN5torch10headeronly6detail27GenericPackedTensorAccessorINS5_14TensorAccessorIN3c108ArrayRefIlEElLm2ENS4_16DefaultPtrTraitsElEENS_6detail16IndexBoundsCheckILm3ElEElLm3ESB_lEENS6_INS7_ISA_T_Lm2ESB_lEESF_SH_Lm3ESB_lEENS6_INS7_ISA_SH_Lm3ESB_lEENSE_ILm4ElEESH_Lm4ESB_lEEPKSH_l.num_named_barrier, 0
	.set _ZN2at6native12_GLOBAL__N_136nll_loss2d_backward_no_reduce_kernelIfEEvlN5torch10headeronly6detail27GenericPackedTensorAccessorINS5_14TensorAccessorIN3c108ArrayRefIlEElLm2ENS4_16DefaultPtrTraitsElEENS_6detail16IndexBoundsCheckILm3ElEElLm3ESB_lEENS6_INS7_ISA_T_Lm2ESB_lEESF_SH_Lm3ESB_lEENS6_INS7_ISA_SH_Lm3ESB_lEENSE_ILm4ElEESH_Lm4ESB_lEEPKSH_l.private_seg_size, 0
	.set _ZN2at6native12_GLOBAL__N_136nll_loss2d_backward_no_reduce_kernelIfEEvlN5torch10headeronly6detail27GenericPackedTensorAccessorINS5_14TensorAccessorIN3c108ArrayRefIlEElLm2ENS4_16DefaultPtrTraitsElEENS_6detail16IndexBoundsCheckILm3ElEElLm3ESB_lEENS6_INS7_ISA_T_Lm2ESB_lEESF_SH_Lm3ESB_lEENS6_INS7_ISA_SH_Lm3ESB_lEENSE_ILm4ElEESH_Lm4ESB_lEEPKSH_l.uses_vcc, 1
	.set _ZN2at6native12_GLOBAL__N_136nll_loss2d_backward_no_reduce_kernelIfEEvlN5torch10headeronly6detail27GenericPackedTensorAccessorINS5_14TensorAccessorIN3c108ArrayRefIlEElLm2ENS4_16DefaultPtrTraitsElEENS_6detail16IndexBoundsCheckILm3ElEElLm3ESB_lEENS6_INS7_ISA_T_Lm2ESB_lEESF_SH_Lm3ESB_lEENS6_INS7_ISA_SH_Lm3ESB_lEENSE_ILm4ElEESH_Lm4ESB_lEEPKSH_l.uses_flat_scratch, 0
	.set _ZN2at6native12_GLOBAL__N_136nll_loss2d_backward_no_reduce_kernelIfEEvlN5torch10headeronly6detail27GenericPackedTensorAccessorINS5_14TensorAccessorIN3c108ArrayRefIlEElLm2ENS4_16DefaultPtrTraitsElEENS_6detail16IndexBoundsCheckILm3ElEElLm3ESB_lEENS6_INS7_ISA_T_Lm2ESB_lEESF_SH_Lm3ESB_lEENS6_INS7_ISA_SH_Lm3ESB_lEENSE_ILm4ElEESH_Lm4ESB_lEEPKSH_l.has_dyn_sized_stack, 0
	.set _ZN2at6native12_GLOBAL__N_136nll_loss2d_backward_no_reduce_kernelIfEEvlN5torch10headeronly6detail27GenericPackedTensorAccessorINS5_14TensorAccessorIN3c108ArrayRefIlEElLm2ENS4_16DefaultPtrTraitsElEENS_6detail16IndexBoundsCheckILm3ElEElLm3ESB_lEENS6_INS7_ISA_T_Lm2ESB_lEESF_SH_Lm3ESB_lEENS6_INS7_ISA_SH_Lm3ESB_lEENSE_ILm4ElEESH_Lm4ESB_lEEPKSH_l.has_recursion, 0
	.set _ZN2at6native12_GLOBAL__N_136nll_loss2d_backward_no_reduce_kernelIfEEvlN5torch10headeronly6detail27GenericPackedTensorAccessorINS5_14TensorAccessorIN3c108ArrayRefIlEElLm2ENS4_16DefaultPtrTraitsElEENS_6detail16IndexBoundsCheckILm3ElEElLm3ESB_lEENS6_INS7_ISA_T_Lm2ESB_lEESF_SH_Lm3ESB_lEENS6_INS7_ISA_SH_Lm3ESB_lEENSE_ILm4ElEESH_Lm4ESB_lEEPKSH_l.has_indirect_call, 0
	.section	.AMDGPU.csdata,"",@progbits
; Kernel info:
; codeLenInByte = 3684
; TotalNumSgprs: 73
; NumVgprs: 28
; ScratchSize: 0
; MemoryBound: 0
; FloatMode: 240
; IeeeMode: 1
; LDSByteSize: 0 bytes/workgroup (compile time only)
; SGPRBlocks: 0
; VGPRBlocks: 1
; NumSGPRsForWavesPerEU: 73
; NumVGPRsForWavesPerEU: 28
; NamedBarCnt: 0
; Occupancy: 16
; WaveLimiterHint : 1
; COMPUTE_PGM_RSRC2:SCRATCH_EN: 0
; COMPUTE_PGM_RSRC2:USER_SGPR: 2
; COMPUTE_PGM_RSRC2:TRAP_HANDLER: 0
; COMPUTE_PGM_RSRC2:TGID_X_EN: 1
; COMPUTE_PGM_RSRC2:TGID_Y_EN: 0
; COMPUTE_PGM_RSRC2:TGID_Z_EN: 0
; COMPUTE_PGM_RSRC2:TIDIG_COMP_CNT: 0
	.section	.text._ZN2at6native12_GLOBAL__N_136nll_loss2d_backward_no_reduce_kernelIN3c104HalfEEEvlN5torch10headeronly6detail27GenericPackedTensorAccessorINS7_14TensorAccessorINS3_8ArrayRefIlEElLm2ENS6_16DefaultPtrTraitsElEENS_6detail16IndexBoundsCheckILm3ElEElLm3ESC_lEENS8_INS9_ISB_T_Lm2ESC_lEESG_SI_Lm3ESC_lEENS8_INS9_ISB_SI_Lm3ESC_lEENSF_ILm4ElEESI_Lm4ESC_lEEPKSI_l,"axG",@progbits,_ZN2at6native12_GLOBAL__N_136nll_loss2d_backward_no_reduce_kernelIN3c104HalfEEEvlN5torch10headeronly6detail27GenericPackedTensorAccessorINS7_14TensorAccessorINS3_8ArrayRefIlEElLm2ENS6_16DefaultPtrTraitsElEENS_6detail16IndexBoundsCheckILm3ElEElLm3ESC_lEENS8_INS9_ISB_T_Lm2ESC_lEESG_SI_Lm3ESC_lEENS8_INS9_ISB_SI_Lm3ESC_lEENSF_ILm4ElEESI_Lm4ESC_lEEPKSI_l,comdat
	.globl	_ZN2at6native12_GLOBAL__N_136nll_loss2d_backward_no_reduce_kernelIN3c104HalfEEEvlN5torch10headeronly6detail27GenericPackedTensorAccessorINS7_14TensorAccessorINS3_8ArrayRefIlEElLm2ENS6_16DefaultPtrTraitsElEENS_6detail16IndexBoundsCheckILm3ElEElLm3ESC_lEENS8_INS9_ISB_T_Lm2ESC_lEESG_SI_Lm3ESC_lEENS8_INS9_ISB_SI_Lm3ESC_lEENSF_ILm4ElEESI_Lm4ESC_lEEPKSI_l ; -- Begin function _ZN2at6native12_GLOBAL__N_136nll_loss2d_backward_no_reduce_kernelIN3c104HalfEEEvlN5torch10headeronly6detail27GenericPackedTensorAccessorINS7_14TensorAccessorINS3_8ArrayRefIlEElLm2ENS6_16DefaultPtrTraitsElEENS_6detail16IndexBoundsCheckILm3ElEElLm3ESC_lEENS8_INS9_ISB_T_Lm2ESC_lEESG_SI_Lm3ESC_lEENS8_INS9_ISB_SI_Lm3ESC_lEENSF_ILm4ElEESI_Lm4ESC_lEEPKSI_l
	.p2align	8
	.type	_ZN2at6native12_GLOBAL__N_136nll_loss2d_backward_no_reduce_kernelIN3c104HalfEEEvlN5torch10headeronly6detail27GenericPackedTensorAccessorINS7_14TensorAccessorINS3_8ArrayRefIlEElLm2ENS6_16DefaultPtrTraitsElEENS_6detail16IndexBoundsCheckILm3ElEElLm3ESC_lEENS8_INS9_ISB_T_Lm2ESC_lEESG_SI_Lm3ESC_lEENS8_INS9_ISB_SI_Lm3ESC_lEENSF_ILm4ElEESI_Lm4ESC_lEEPKSI_l,@function
_ZN2at6native12_GLOBAL__N_136nll_loss2d_backward_no_reduce_kernelIN3c104HalfEEEvlN5torch10headeronly6detail27GenericPackedTensorAccessorINS7_14TensorAccessorINS3_8ArrayRefIlEElLm2ENS6_16DefaultPtrTraitsElEENS_6detail16IndexBoundsCheckILm3ElEElLm3ESC_lEENS8_INS9_ISB_T_Lm2ESC_lEESG_SI_Lm3ESC_lEENS8_INS9_ISB_SI_Lm3ESC_lEENSF_ILm4ElEESI_Lm4ESC_lEEPKSI_l: ; @_ZN2at6native12_GLOBAL__N_136nll_loss2d_backward_no_reduce_kernelIN3c104HalfEEEvlN5torch10headeronly6detail27GenericPackedTensorAccessorINS7_14TensorAccessorINS3_8ArrayRefIlEElLm2ENS6_16DefaultPtrTraitsElEENS_6detail16IndexBoundsCheckILm3ElEElLm3ESC_lEENS8_INS9_ISB_T_Lm2ESC_lEESG_SI_Lm3ESC_lEENS8_INS9_ISB_SI_Lm3ESC_lEENSF_ILm4ElEESI_Lm4ESC_lEEPKSI_l
; %bb.0:
	s_clause 0x1
	s_load_b32 s4, s[0:1], 0xdc
	s_load_b64 s[2:3], s[0:1], 0x0
	s_bfe_u32 s5, ttmp6, 0x4000c
	v_mov_b32_e32 v2, 0
	s_add_co_i32 s5, s5, 1
	s_and_b32 s6, ttmp6, 15
	s_mul_i32 s5, ttmp9, s5
	s_getreg_b32 s7, hwreg(HW_REG_IB_STS2, 6, 4)
	v_mov_b32_e32 v1, v2
	s_add_co_i32 s6, s6, s5
	s_mov_b32 s35, 0
	s_wait_kmcnt 0x0
	s_and_b32 s33, s4, 0xffff
	s_cmp_eq_u32 s7, 0
	s_cselect_b32 s4, ttmp9, s6
	s_delay_alu instid0(SALU_CYCLE_1) | instskip(SKIP_1) | instid1(VALU_DEP_1)
	v_mad_nc_u64_u32 v[0:1], s33, s4, v[0:1]
	s_mov_b32 s4, exec_lo
	v_cmpx_gt_i64_e64 s[2:3], v[0:1]
	s_cbranch_execz .LBB18_29
; %bb.1:
	s_clause 0x1
	s_load_b128 s[28:31], s[0:1], 0x10
	s_load_b128 s[36:39], s[0:1], 0xc0
	s_add_nc_u64 s[12:13], s[0:1], 0xd0
	s_load_b32 s34, s[12:13], 0x0
	s_clause 0x3
	s_load_b64 s[40:41], s[0:1], 0x8
	s_load_b64 s[42:43], s[0:1], 0x20
	s_load_b256 s[4:11], s[0:1], 0x28
	s_load_b64 s[44:45], s[0:1], 0x88
	s_wait_xcnt 0x0
	s_clause 0x1
	s_load_b256 s[12:19], s[0:1], 0x60
	s_load_b256 s[20:27], s[0:1], 0xa0
	s_mov_b32 s47, s35
	s_mov_b32 s48, s35
	s_mov_b64 s[50:51], 0xffffffff
                                        ; implicit-def: $sgpr60
                                        ; implicit-def: $sgpr61
	s_wait_kmcnt 0x0
	v_cvt_f32_u32_e32 v3, s28
	s_cmp_lg_u64 s[36:37], 0
	s_mul_i32 s46, s34, s33
	s_mul_u64 s[52:53], s[30:31], s[28:29]
	s_cselect_b32 s1, -1, 0
	v_rcp_iflag_f32_e32 v4, v3
	v_nop
	v_mov_b32_e32 v3, v0
	s_mov_b32 s49, s46
	s_ashr_i32 s54, s29, 31
	s_mov_b32 s33, 0
	s_delay_alu instid0(TRANS32_DEP_1) | instskip(NEXT) | instid1(VALU_DEP_1)
	v_mul_f32_e32 v4, 0x4f7ffffe, v4
	v_cvt_u32_f32_e32 v16, v4
	v_mov_b64_e32 v[4:5], v[2:3]
	s_branch .LBB18_3
.LBB18_2:                               ;   in Loop: Header=BB18_3 Depth=1
	s_or_b32 exec_lo, exec_lo, s0
	s_delay_alu instid0(SALU_CYCLE_1) | instskip(NEXT) | instid1(SALU_CYCLE_1)
	s_and_b32 s0, exec_lo, s34
	s_or_b32 s33, s0, s33
	s_and_not1_b32 s0, s60, exec_lo
	s_and_b32 s34, s61, exec_lo
	s_delay_alu instid0(SALU_CYCLE_1)
	s_or_b32 s60, s0, s34
	s_and_not1_b32 exec_lo, exec_lo, s33
	s_cbranch_execz .LBB18_28
.LBB18_3:                               ; =>This Inner Loop Header: Depth=1
	s_delay_alu instid0(VALU_DEP_1) | instskip(SKIP_1) | instid1(VALU_DEP_1)
	v_dual_mov_b32 v6, v5 :: v_dual_ashrrev_i32 v7, 31, v5
                                        ; implicit-def: $vgpr8_vgpr9
	s_mov_b32 s0, exec_lo
	v_dual_ashrrev_i32 v10, 31, v7 :: v_dual_bitop2_b32 v3, s29, v7 bitop3:0x54
	s_delay_alu instid0(VALU_DEP_1)
	v_cmpx_ne_u64_e32 0, v[2:3]
	s_xor_b32 s58, exec_lo, s0
	s_cbranch_execz .LBB18_5
; %bb.4:                                ;   in Loop: Header=BB18_3 Depth=1
	s_mov_b32 s55, s54
	v_dual_mov_b32 v11, v10 :: v_dual_mov_b32 v13, v2
	s_add_nc_u64 s[56:57], s[28:29], s[54:55]
	v_mov_b32_e32 v19, v2
	s_xor_b64 s[56:57], s[56:57], s[54:55]
	s_delay_alu instid0(VALU_DEP_2) | instskip(SKIP_4) | instid1(SALU_CYCLE_1)
	v_add_nc_u64_e32 v[8:9], v[6:7], v[10:11]
	s_cvt_f32_u32 s0, s56
	s_cvt_f32_u32 s34, s57
	s_sub_nc_u64 s[64:65], 0, s[56:57]
	v_mov_b32_e32 v23, v2
	s_fmamk_f32 s0, s34, 0x4f800000, s0
	s_delay_alu instid0(VALU_DEP_2) | instskip(SKIP_1) | instid1(SALU_CYCLE_1)
	v_xor_b32_e32 v12, v8, v10
	v_xor_b32_e32 v18, v9, v10
	v_s_rcp_f32 s0, s0
	s_delay_alu instid0(TRANS32_DEP_1) | instskip(NEXT) | instid1(SALU_CYCLE_3)
	s_mul_f32 s0, s0, 0x5f7ffffc
	s_mul_f32 s34, s0, 0x2f800000
	s_delay_alu instid0(SALU_CYCLE_3) | instskip(NEXT) | instid1(SALU_CYCLE_3)
	s_trunc_f32 s34, s34
	s_fmamk_f32 s0, s34, 0xcf800000, s0
	s_cvt_u32_f32 s63, s34
	s_delay_alu instid0(SALU_CYCLE_2) | instskip(NEXT) | instid1(SALU_CYCLE_3)
	s_cvt_u32_f32 s62, s0
	s_mul_u64 s[66:67], s[64:65], s[62:63]
	s_delay_alu instid0(SALU_CYCLE_1)
	s_mul_hi_u32 s69, s62, s67
	s_mul_i32 s68, s62, s67
	s_mul_hi_u32 s34, s62, s66
	s_mul_i32 s55, s63, s66
	s_add_nc_u64 s[68:69], s[34:35], s[68:69]
	s_mul_hi_u32 s0, s63, s66
	s_mul_hi_u32 s59, s63, s67
	s_add_co_u32 s34, s68, s55
	s_add_co_ci_u32 s34, s69, s0
	s_mul_i32 s66, s63, s67
	s_add_co_ci_u32 s67, s59, 0
	s_delay_alu instid0(SALU_CYCLE_1) | instskip(NEXT) | instid1(SALU_CYCLE_1)
	s_add_nc_u64 s[66:67], s[34:35], s[66:67]
	s_add_co_u32 s62, s62, s66
	s_cselect_b32 s0, -1, 0
	s_delay_alu instid0(SALU_CYCLE_1) | instskip(SKIP_1) | instid1(SALU_CYCLE_1)
	s_cmp_lg_u32 s0, 0
	s_add_co_ci_u32 s63, s63, s67
	s_mul_u64 s[64:65], s[64:65], s[62:63]
	s_delay_alu instid0(SALU_CYCLE_1)
	s_mul_hi_u32 s67, s62, s65
	s_mul_i32 s66, s62, s65
	s_mul_hi_u32 s34, s62, s64
	s_mul_i32 s55, s63, s64
	s_add_nc_u64 s[66:67], s[34:35], s[66:67]
	s_mul_hi_u32 s0, s63, s64
	s_mul_hi_u32 s59, s63, s65
	s_add_co_u32 s34, s66, s55
	s_add_co_ci_u32 s34, s67, s0
	s_mul_i32 s64, s63, s65
	s_add_co_ci_u32 s65, s59, 0
	s_delay_alu instid0(SALU_CYCLE_1) | instskip(NEXT) | instid1(SALU_CYCLE_1)
	s_add_nc_u64 s[64:65], s[34:35], s[64:65]
	s_add_co_u32 s0, s62, s64
	s_cselect_b32 s34, -1, 0
	v_nop
	v_mul_hi_u32 v22, v12, s0
	s_cmp_lg_u32 s34, 0
	s_add_co_ci_u32 s34, s63, s65
	s_and_b64 s[62:63], s[0:1], s[50:51]
	v_mul_u64_e32 v[14:15], s[34:35], v[12:13]
	v_mul_u64_e32 v[8:9], s[62:63], v[18:19]
	;; [unrolled: 1-line block ×3, first 2 shown]
	s_delay_alu instid0(VALU_DEP_3) | instskip(NEXT) | instid1(VALU_DEP_1)
	v_add_nc_u64_e32 v[14:15], v[22:23], v[14:15]
	v_add_co_u32 v3, vcc_lo, v14, v8
	s_delay_alu instid0(VALU_DEP_2) | instskip(NEXT) | instid1(VALU_DEP_4)
	v_add_co_ci_u32_e32 v22, vcc_lo, v15, v9, vcc_lo
	v_add_co_ci_u32_e32 v21, vcc_lo, 0, v21, vcc_lo
	s_delay_alu instid0(VALU_DEP_1) | instskip(NEXT) | instid1(VALU_DEP_1)
	v_add_nc_u64_e32 v[8:9], v[22:23], v[20:21]
	v_mul_u64_e32 v[14:15], s[56:57], v[8:9]
	s_delay_alu instid0(VALU_DEP_1) | instskip(NEXT) | instid1(VALU_DEP_2)
	v_sub_nc_u32_e32 v3, v18, v15
	v_sub_co_u32 v11, vcc_lo, v12, v14
	s_delay_alu instid0(VALU_DEP_1) | instskip(NEXT) | instid1(VALU_DEP_3)
	v_sub_co_ci_u32_e64 v17, null, v18, v15, vcc_lo
	v_subrev_co_ci_u32_e64 v3, null, s57, v3, vcc_lo
	s_delay_alu instid0(VALU_DEP_3) | instskip(SKIP_1) | instid1(VALU_DEP_3)
	v_sub_co_u32 v12, s0, v11, s56
	v_add_nc_u64_e32 v[14:15], 1, v[8:9]
	v_subrev_co_ci_u32_e64 v3, null, 0, v3, s0
	s_delay_alu instid0(VALU_DEP_3) | instskip(SKIP_1) | instid1(VALU_DEP_3)
	v_cmp_le_u32_e32 vcc_lo, s56, v12
	v_cndmask_b32_e64 v12, 0, -1, vcc_lo
	v_cmp_le_u32_e32 vcc_lo, s57, v3
	v_cndmask_b32_e64 v13, 0, -1, vcc_lo
	;; [unrolled: 2-line block ×4, first 2 shown]
	v_cmp_eq_u32_e32 vcc_lo, s57, v3
	v_cndmask_b32_e32 v3, v13, v12, vcc_lo
	v_cmp_eq_u32_e32 vcc_lo, s57, v17
	v_add_nc_u64_e32 v[12:13], 2, v[8:9]
	v_cndmask_b32_e32 v11, v18, v11, vcc_lo
	s_delay_alu instid0(VALU_DEP_4) | instskip(NEXT) | instid1(VALU_DEP_2)
	v_cmp_ne_u32_e32 vcc_lo, 0, v3
	v_cmp_ne_u32_e64 s0, 0, v11
	s_delay_alu instid0(VALU_DEP_4) | instskip(NEXT) | instid1(VALU_DEP_1)
	v_dual_cndmask_b32 v3, v15, v13, vcc_lo :: v_dual_cndmask_b32 v11, v14, v12, vcc_lo
	v_dual_cndmask_b32 v3, v9, v3, s0 :: v_dual_bitop2_b32 v12, s54, v10 bitop3:0x14
	s_delay_alu instid0(VALU_DEP_1) | instskip(NEXT) | instid1(VALU_DEP_2)
	v_mov_b32_e32 v13, v12
	v_dual_cndmask_b32 v8, v8, v11, s0 :: v_dual_bitop2_b32 v9, v3, v12 bitop3:0x14
	s_delay_alu instid0(VALU_DEP_1) | instskip(NEXT) | instid1(VALU_DEP_1)
	v_xor_b32_e32 v8, v8, v12
	v_sub_nc_u64_e32 v[8:9], v[8:9], v[12:13]
.LBB18_5:                               ;   in Loop: Header=BB18_3 Depth=1
	s_and_not1_saveexec_b32 s0, s58
	s_cbranch_execz .LBB18_7
; %bb.6:                                ;   in Loop: Header=BB18_3 Depth=1
	s_sub_co_i32 s34, 0, s28
	s_delay_alu instid0(SALU_CYCLE_1) | instskip(NEXT) | instid1(VALU_DEP_1)
	v_mul_lo_u32 v3, s34, v16
	v_mul_hi_u32 v3, v16, v3
	s_delay_alu instid0(VALU_DEP_1) | instskip(NEXT) | instid1(VALU_DEP_1)
	v_add_nc_u32_e32 v3, v16, v3
	v_mul_hi_u32 v3, v6, v3
	s_delay_alu instid0(VALU_DEP_1) | instskip(NEXT) | instid1(VALU_DEP_1)
	v_mul_lo_u32 v8, v3, s28
	v_dual_add_nc_u32 v9, 1, v3 :: v_dual_sub_nc_u32 v8, v6, v8
	s_delay_alu instid0(VALU_DEP_1) | instskip(SKIP_1) | instid1(VALU_DEP_2)
	v_subrev_nc_u32_e32 v11, s28, v8
	v_cmp_le_u32_e32 vcc_lo, s28, v8
	v_dual_cndmask_b32 v8, v8, v11 :: v_dual_cndmask_b32 v3, v3, v9
	s_delay_alu instid0(VALU_DEP_1) | instskip(NEXT) | instid1(VALU_DEP_2)
	v_cmp_le_u32_e32 vcc_lo, s28, v8
	v_add_nc_u32_e32 v9, 1, v3
	s_delay_alu instid0(VALU_DEP_1)
	v_dual_cndmask_b32 v8, v3, v9 :: v_dual_mov_b32 v9, v2
.LBB18_7:                               ;   in Loop: Header=BB18_3 Depth=1
	s_or_b32 exec_lo, exec_lo, s0
	s_delay_alu instid0(VALU_DEP_1) | instskip(SKIP_1) | instid1(VALU_DEP_1)
	v_or_b32_e32 v3, s31, v9
                                        ; implicit-def: $vgpr12_vgpr13
	s_mov_b32 s0, exec_lo
	v_cmpx_ne_u64_e32 0, v[2:3]
	s_xor_b32 s55, exec_lo, s0
	s_cbranch_execz .LBB18_9
; %bb.8:                                ;   in Loop: Header=BB18_3 Depth=1
	s_ashr_i32 s56, s31, 31
	v_dual_mov_b32 v19, v2 :: v_dual_ashrrev_i32 v12, 31, v9
	s_mov_b32 s57, s56
	v_mov_b32_e32 v27, v2
	s_add_nc_u64 s[58:59], s[30:31], s[56:57]
	s_delay_alu instid0(VALU_DEP_2) | instskip(SKIP_1) | instid1(SALU_CYCLE_1)
	v_mov_b32_e32 v13, v12
	s_xor_b64 s[56:57], s[58:59], s[56:57]
	s_cvt_f32_u32 s0, s56
	s_cvt_f32_u32 s34, s57
	s_sub_nc_u64 s[62:63], 0, s[56:57]
	v_add_nc_u64_e32 v[14:15], v[8:9], v[12:13]
	v_mov_b32_e32 v23, v2
	s_fmamk_f32 s0, s34, 0x4f800000, s0
	s_delay_alu instid0(SALU_CYCLE_3) | instskip(NEXT) | instid1(VALU_DEP_2)
	v_s_rcp_f32 s0, s0
	v_xor_b32_e32 v18, v14, v12
	s_delay_alu instid0(VALU_DEP_3) | instskip(NEXT) | instid1(TRANS32_DEP_1)
	v_xor_b32_e32 v22, v15, v12
	s_mul_f32 s0, s0, 0x5f7ffffc
	s_delay_alu instid0(SALU_CYCLE_3) | instskip(NEXT) | instid1(SALU_CYCLE_3)
	s_mul_f32 s34, s0, 0x2f800000
	s_trunc_f32 s34, s34
	s_delay_alu instid0(SALU_CYCLE_3) | instskip(SKIP_1) | instid1(SALU_CYCLE_2)
	s_fmamk_f32 s0, s34, 0xcf800000, s0
	s_cvt_u32_f32 s59, s34
	s_cvt_u32_f32 s58, s0
	s_delay_alu instid0(SALU_CYCLE_3) | instskip(NEXT) | instid1(SALU_CYCLE_1)
	s_mul_u64 s[64:65], s[62:63], s[58:59]
	s_mul_hi_u32 s67, s58, s65
	s_mul_i32 s66, s58, s65
	s_mul_hi_u32 s34, s58, s64
	s_mul_i32 s68, s59, s64
	s_add_nc_u64 s[66:67], s[34:35], s[66:67]
	s_mul_hi_u32 s0, s59, s64
	s_mul_hi_u32 s69, s59, s65
	s_add_co_u32 s34, s66, s68
	s_add_co_ci_u32 s34, s67, s0
	s_mul_i32 s64, s59, s65
	s_add_co_ci_u32 s65, s69, 0
	s_delay_alu instid0(SALU_CYCLE_1) | instskip(NEXT) | instid1(SALU_CYCLE_1)
	s_add_nc_u64 s[64:65], s[34:35], s[64:65]
	s_add_co_u32 s58, s58, s64
	s_cselect_b32 s0, -1, 0
	s_delay_alu instid0(SALU_CYCLE_1) | instskip(SKIP_1) | instid1(SALU_CYCLE_1)
	s_cmp_lg_u32 s0, 0
	s_add_co_ci_u32 s59, s59, s65
	s_mul_u64 s[62:63], s[62:63], s[58:59]
	s_delay_alu instid0(SALU_CYCLE_1)
	s_mul_hi_u32 s65, s58, s63
	s_mul_i32 s64, s58, s63
	s_mul_hi_u32 s34, s58, s62
	s_mul_i32 s66, s59, s62
	s_add_nc_u64 s[64:65], s[34:35], s[64:65]
	s_mul_hi_u32 s0, s59, s62
	s_mul_hi_u32 s67, s59, s63
	s_add_co_u32 s34, s64, s66
	s_add_co_ci_u32 s34, s65, s0
	s_mul_i32 s62, s59, s63
	s_add_co_ci_u32 s63, s67, 0
	s_delay_alu instid0(SALU_CYCLE_1) | instskip(NEXT) | instid1(SALU_CYCLE_1)
	s_add_nc_u64 s[62:63], s[34:35], s[62:63]
	s_add_co_u32 s0, s58, s62
	s_cselect_b32 s34, -1, 0
	v_mul_hi_u32 v26, v18, s0
	s_cmp_lg_u32 s34, 0
	s_add_co_ci_u32 s34, s59, s63
	s_and_b64 s[58:59], s[0:1], s[50:51]
	v_mul_u64_e32 v[20:21], s[34:35], v[18:19]
	v_mul_u64_e32 v[14:15], s[58:59], v[22:23]
	;; [unrolled: 1-line block ×3, first 2 shown]
	s_delay_alu instid0(VALU_DEP_3) | instskip(NEXT) | instid1(VALU_DEP_1)
	v_add_nc_u64_e32 v[20:21], v[26:27], v[20:21]
	v_add_co_u32 v3, vcc_lo, v20, v14
	s_delay_alu instid0(VALU_DEP_2) | instskip(NEXT) | instid1(VALU_DEP_4)
	v_add_co_ci_u32_e32 v26, vcc_lo, v21, v15, vcc_lo
	v_add_co_ci_u32_e32 v25, vcc_lo, 0, v25, vcc_lo
	s_delay_alu instid0(VALU_DEP_1) | instskip(NEXT) | instid1(VALU_DEP_1)
	v_add_nc_u64_e32 v[14:15], v[26:27], v[24:25]
	v_mul_u64_e32 v[14:15], s[56:57], v[14:15]
	s_delay_alu instid0(VALU_DEP_1) | instskip(NEXT) | instid1(VALU_DEP_1)
	v_sub_co_u32 v11, vcc_lo, v18, v14
	v_sub_co_ci_u32_e64 v14, null, v22, v15, vcc_lo
	s_delay_alu instid0(VALU_DEP_2) | instskip(NEXT) | instid1(VALU_DEP_1)
	v_cmp_le_u32_e64 s0, s56, v11
	v_cndmask_b32_e64 v18, 0, -1, s0
	v_sub_nc_u32_e32 v3, v22, v15
	s_delay_alu instid0(VALU_DEP_1) | instskip(SKIP_1) | instid1(VALU_DEP_1)
	v_subrev_co_ci_u32_e64 v3, null, s57, v3, vcc_lo
	v_sub_co_u32 v15, vcc_lo, v11, s56
	v_subrev_co_ci_u32_e64 v17, null, 0, v3, vcc_lo
	s_delay_alu instid0(VALU_DEP_2) | instskip(SKIP_2) | instid1(VALU_DEP_3)
	v_cmp_le_u32_e64 s0, s56, v15
	v_subrev_co_ci_u32_e64 v3, null, s57, v3, vcc_lo
	v_cmp_le_u32_e32 vcc_lo, s57, v14
	v_cndmask_b32_e64 v19, 0, -1, s0
	v_cmp_le_u32_e64 s0, s57, v17
	v_cndmask_b32_e64 v21, 0, -1, vcc_lo
	v_cmp_eq_u32_e32 vcc_lo, s57, v17
	s_delay_alu instid0(VALU_DEP_3) | instskip(SKIP_1) | instid1(VALU_DEP_2)
	v_cndmask_b32_e64 v20, 0, -1, s0
	v_cmp_eq_u32_e64 s0, s57, v14
	v_cndmask_b32_e32 v19, v20, v19, vcc_lo
	v_sub_co_u32 v20, vcc_lo, v15, s56
	s_delay_alu instid0(VALU_DEP_1) | instskip(NEXT) | instid1(VALU_DEP_3)
	v_subrev_co_ci_u32_e64 v3, null, 0, v3, vcc_lo
	v_cmp_ne_u32_e32 vcc_lo, 0, v19
	v_cndmask_b32_e64 v18, v21, v18, s0
	s_delay_alu instid0(VALU_DEP_3) | instskip(NEXT) | instid1(VALU_DEP_2)
	v_dual_cndmask_b32 v3, v17, v3, vcc_lo :: v_dual_cndmask_b32 v15, v15, v20, vcc_lo
	v_cmp_ne_u32_e32 vcc_lo, 0, v18
	s_delay_alu instid0(VALU_DEP_2) | instskip(NEXT) | instid1(VALU_DEP_1)
	v_cndmask_b32_e32 v11, v11, v15, vcc_lo
	v_dual_cndmask_b32 v3, v14, v3, vcc_lo :: v_dual_bitop2_b32 v14, v11, v12 bitop3:0x14
	s_delay_alu instid0(VALU_DEP_1) | instskip(NEXT) | instid1(VALU_DEP_1)
	v_xor_b32_e32 v15, v3, v12
	v_sub_nc_u64_e32 v[12:13], v[14:15], v[12:13]
.LBB18_9:                               ;   in Loop: Header=BB18_3 Depth=1
	s_and_not1_saveexec_b32 s0, s55
	s_cbranch_execz .LBB18_11
; %bb.10:                               ;   in Loop: Header=BB18_3 Depth=1
	v_cvt_f32_u32_e32 v3, s30
	s_sub_co_i32 s34, 0, s30
	v_mov_b32_e32 v13, v2
	s_delay_alu instid0(VALU_DEP_2) | instskip(SKIP_1) | instid1(TRANS32_DEP_1)
	v_rcp_iflag_f32_e32 v3, v3
	v_nop
	v_mul_f32_e32 v3, 0x4f7ffffe, v3
	s_delay_alu instid0(VALU_DEP_1) | instskip(NEXT) | instid1(VALU_DEP_1)
	v_cvt_u32_f32_e32 v3, v3
	v_mul_lo_u32 v11, s34, v3
	s_delay_alu instid0(VALU_DEP_1) | instskip(NEXT) | instid1(VALU_DEP_1)
	v_mul_hi_u32 v11, v3, v11
	v_add_nc_u32_e32 v3, v3, v11
	s_delay_alu instid0(VALU_DEP_1) | instskip(NEXT) | instid1(VALU_DEP_1)
	v_mul_hi_u32 v3, v8, v3
	v_mul_lo_u32 v3, v3, s30
	s_delay_alu instid0(VALU_DEP_1) | instskip(NEXT) | instid1(VALU_DEP_1)
	v_sub_nc_u32_e32 v3, v8, v3
	v_subrev_nc_u32_e32 v11, s30, v3
	v_cmp_le_u32_e32 vcc_lo, s30, v3
	s_delay_alu instid0(VALU_DEP_2) | instskip(NEXT) | instid1(VALU_DEP_1)
	v_cndmask_b32_e32 v3, v3, v11, vcc_lo
	v_subrev_nc_u32_e32 v11, s30, v3
	v_cmp_le_u32_e32 vcc_lo, s30, v3
	s_delay_alu instid0(VALU_DEP_2)
	v_cndmask_b32_e32 v12, v3, v11, vcc_lo
.LBB18_11:                              ;   in Loop: Header=BB18_3 Depth=1
	s_or_b32 exec_lo, exec_lo, s0
	v_or_b32_e32 v3, s53, v7
                                        ; implicit-def: $vgpr14_vgpr15
	s_mov_b32 s0, exec_lo
	s_delay_alu instid0(VALU_DEP_1)
	v_cmpx_ne_u64_e32 0, v[2:3]
	s_xor_b32 s55, exec_lo, s0
	s_cbranch_execz .LBB18_13
; %bb.12:                               ;   in Loop: Header=BB18_3 Depth=1
	s_ashr_i32 s56, s53, 31
	v_dual_mov_b32 v11, v10 :: v_dual_mov_b32 v19, v2
	s_mov_b32 s57, s56
	v_mov_b32_e32 v27, v2
	s_add_nc_u64 s[58:59], s[52:53], s[56:57]
	s_delay_alu instid0(VALU_DEP_2)
	v_add_nc_u64_e32 v[14:15], v[6:7], v[10:11]
	s_xor_b64 s[58:59], s[58:59], s[56:57]
	v_mov_b32_e32 v23, v2
	s_cvt_f32_u32 s0, s58
	s_cvt_f32_u32 s34, s59
	s_sub_nc_u64 s[64:65], 0, s[58:59]
	s_delay_alu instid0(VALU_DEP_2) | instskip(NEXT) | instid1(SALU_CYCLE_1)
	v_xor_b32_e32 v18, v14, v10
	s_fmamk_f32 s0, s34, 0x4f800000, s0
	v_xor_b32_e32 v22, v15, v10
	v_xor_b32_e32 v10, s56, v10
	s_delay_alu instid0(SALU_CYCLE_1) | instskip(NEXT) | instid1(TRANS32_DEP_1)
	v_s_rcp_f32 s0, s0
	s_mul_f32 s0, s0, 0x5f7ffffc
	s_delay_alu instid0(SALU_CYCLE_3) | instskip(NEXT) | instid1(SALU_CYCLE_3)
	s_mul_f32 s34, s0, 0x2f800000
	s_trunc_f32 s34, s34
	s_delay_alu instid0(SALU_CYCLE_3) | instskip(SKIP_1) | instid1(SALU_CYCLE_2)
	s_fmamk_f32 s0, s34, 0xcf800000, s0
	s_cvt_u32_f32 s63, s34
	s_cvt_u32_f32 s62, s0
	s_delay_alu instid0(SALU_CYCLE_3) | instskip(NEXT) | instid1(SALU_CYCLE_1)
	s_mul_u64 s[66:67], s[64:65], s[62:63]
	s_mul_hi_u32 s69, s62, s67
	s_mul_i32 s68, s62, s67
	s_mul_hi_u32 s34, s62, s66
	s_mul_i32 s57, s63, s66
	s_add_nc_u64 s[68:69], s[34:35], s[68:69]
	s_mul_hi_u32 s0, s63, s66
	s_mul_hi_u32 s70, s63, s67
	s_add_co_u32 s34, s68, s57
	s_add_co_ci_u32 s34, s69, s0
	s_mul_i32 s66, s63, s67
	s_add_co_ci_u32 s67, s70, 0
	s_delay_alu instid0(SALU_CYCLE_1) | instskip(NEXT) | instid1(SALU_CYCLE_1)
	s_add_nc_u64 s[66:67], s[34:35], s[66:67]
	s_add_co_u32 s62, s62, s66
	s_cselect_b32 s0, -1, 0
	s_delay_alu instid0(SALU_CYCLE_1) | instskip(SKIP_1) | instid1(SALU_CYCLE_1)
	s_cmp_lg_u32 s0, 0
	s_add_co_ci_u32 s63, s63, s67
	s_mul_u64 s[64:65], s[64:65], s[62:63]
	s_delay_alu instid0(SALU_CYCLE_1)
	s_mul_hi_u32 s67, s62, s65
	s_mul_i32 s66, s62, s65
	s_mul_hi_u32 s34, s62, s64
	s_mul_i32 s57, s63, s64
	s_add_nc_u64 s[66:67], s[34:35], s[66:67]
	s_mul_hi_u32 s0, s63, s64
	s_mul_hi_u32 s68, s63, s65
	s_add_co_u32 s34, s66, s57
	s_add_co_ci_u32 s34, s67, s0
	s_mul_i32 s64, s63, s65
	s_add_co_ci_u32 s65, s68, 0
	s_delay_alu instid0(SALU_CYCLE_1) | instskip(NEXT) | instid1(SALU_CYCLE_1)
	s_add_nc_u64 s[64:65], s[34:35], s[64:65]
	s_add_co_u32 s0, s62, s64
	s_cselect_b32 s34, -1, 0
	v_nop
	v_mul_hi_u32 v26, v18, s0
	s_cmp_lg_u32 s34, 0
	s_add_co_ci_u32 s34, s63, s65
	s_and_b64 s[62:63], s[0:1], s[50:51]
	v_mul_u64_e32 v[20:21], s[34:35], v[18:19]
	v_mul_u64_e32 v[14:15], s[62:63], v[22:23]
	;; [unrolled: 1-line block ×3, first 2 shown]
	s_delay_alu instid0(VALU_DEP_3) | instskip(NEXT) | instid1(VALU_DEP_1)
	v_add_nc_u64_e32 v[20:21], v[26:27], v[20:21]
	v_add_co_u32 v3, vcc_lo, v20, v14
	s_delay_alu instid0(VALU_DEP_2) | instskip(NEXT) | instid1(VALU_DEP_4)
	v_add_co_ci_u32_e32 v26, vcc_lo, v21, v15, vcc_lo
	v_add_co_ci_u32_e32 v25, vcc_lo, 0, v25, vcc_lo
	s_delay_alu instid0(VALU_DEP_1) | instskip(NEXT) | instid1(VALU_DEP_1)
	v_add_nc_u64_e32 v[14:15], v[26:27], v[24:25]
	v_mul_u64_e32 v[20:21], s[58:59], v[14:15]
	s_delay_alu instid0(VALU_DEP_1) | instskip(NEXT) | instid1(VALU_DEP_2)
	v_sub_nc_u32_e32 v3, v22, v21
	v_sub_co_u32 v11, vcc_lo, v18, v20
	s_delay_alu instid0(VALU_DEP_1) | instskip(NEXT) | instid1(VALU_DEP_3)
	v_sub_co_ci_u32_e64 v22, null, v22, v21, vcc_lo
	v_subrev_co_ci_u32_e64 v3, null, s59, v3, vcc_lo
	s_delay_alu instid0(VALU_DEP_3) | instskip(SKIP_1) | instid1(VALU_DEP_3)
	v_sub_co_u32 v17, s0, v11, s58
	v_add_nc_u64_e32 v[20:21], 1, v[14:15]
	v_subrev_co_ci_u32_e64 v3, null, 0, v3, s0
	s_delay_alu instid0(VALU_DEP_3) | instskip(SKIP_1) | instid1(VALU_DEP_3)
	v_cmp_le_u32_e32 vcc_lo, s58, v17
	v_cndmask_b32_e64 v17, 0, -1, vcc_lo
	v_cmp_le_u32_e32 vcc_lo, s59, v3
	v_cndmask_b32_e64 v18, 0, -1, vcc_lo
	;; [unrolled: 2-line block ×4, first 2 shown]
	v_cmp_eq_u32_e32 vcc_lo, s59, v3
	v_cndmask_b32_e32 v3, v18, v17, vcc_lo
	v_cmp_eq_u32_e32 vcc_lo, s59, v22
	v_add_nc_u64_e32 v[18:19], 2, v[14:15]
	v_cndmask_b32_e32 v11, v23, v11, vcc_lo
	s_delay_alu instid0(VALU_DEP_4) | instskip(NEXT) | instid1(VALU_DEP_2)
	v_cmp_ne_u32_e32 vcc_lo, 0, v3
	v_cmp_ne_u32_e64 s0, 0, v11
	s_delay_alu instid0(VALU_DEP_4) | instskip(NEXT) | instid1(VALU_DEP_1)
	v_dual_cndmask_b32 v3, v21, v19, vcc_lo :: v_dual_cndmask_b32 v11, v20, v18, vcc_lo
	v_cndmask_b32_e64 v3, v15, v3, s0
	s_delay_alu instid0(VALU_DEP_2) | instskip(NEXT) | instid1(VALU_DEP_2)
	v_cndmask_b32_e64 v14, v14, v11, s0
	v_dual_mov_b32 v11, v10 :: v_dual_bitop2_b32 v15, v3, v10 bitop3:0x14
	s_delay_alu instid0(VALU_DEP_2) | instskip(NEXT) | instid1(VALU_DEP_1)
	v_xor_b32_e32 v14, v14, v10
	v_sub_nc_u64_e32 v[14:15], v[14:15], v[10:11]
.LBB18_13:                              ;   in Loop: Header=BB18_3 Depth=1
	s_and_not1_saveexec_b32 s0, s55
	s_cbranch_execz .LBB18_15
; %bb.14:                               ;   in Loop: Header=BB18_3 Depth=1
	v_cvt_f32_u32_e32 v3, s52
	s_sub_co_i32 s34, 0, s52
	v_mov_b32_e32 v15, v2
	s_delay_alu instid0(VALU_DEP_2) | instskip(SKIP_1) | instid1(TRANS32_DEP_1)
	v_rcp_iflag_f32_e32 v3, v3
	v_nop
	v_mul_f32_e32 v3, 0x4f7ffffe, v3
	s_delay_alu instid0(VALU_DEP_1) | instskip(NEXT) | instid1(VALU_DEP_1)
	v_cvt_u32_f32_e32 v3, v3
	v_mul_lo_u32 v10, s34, v3
	s_delay_alu instid0(VALU_DEP_1) | instskip(NEXT) | instid1(VALU_DEP_1)
	v_mul_hi_u32 v10, v3, v10
	v_add_nc_u32_e32 v3, v3, v10
	s_delay_alu instid0(VALU_DEP_1) | instskip(NEXT) | instid1(VALU_DEP_1)
	v_mul_hi_u32 v3, v5, v3
	v_mul_lo_u32 v10, v3, s52
	s_delay_alu instid0(VALU_DEP_1) | instskip(NEXT) | instid1(VALU_DEP_1)
	v_sub_nc_u32_e32 v10, v5, v10
	v_subrev_nc_u32_e32 v14, s52, v10
	v_cmp_le_u32_e32 vcc_lo, s52, v10
	s_delay_alu instid0(VALU_DEP_2) | instskip(NEXT) | instid1(VALU_DEP_1)
	v_dual_cndmask_b32 v10, v10, v14 :: v_dual_add_nc_u32 v11, 1, v3
	v_cndmask_b32_e32 v3, v3, v11, vcc_lo
	s_delay_alu instid0(VALU_DEP_2) | instskip(NEXT) | instid1(VALU_DEP_2)
	v_cmp_le_u32_e32 vcc_lo, s52, v10
	v_add_nc_u32_e32 v11, 1, v3
	s_delay_alu instid0(VALU_DEP_1)
	v_cndmask_b32_e32 v14, v3, v11, vcc_lo
.LBB18_15:                              ;   in Loop: Header=BB18_3 Depth=1
	s_or_b32 exec_lo, exec_lo, s0
	s_delay_alu instid0(VALU_DEP_1) | instskip(SKIP_1) | instid1(VALU_DEP_1)
	v_or_b32_e32 v3, s43, v15
                                        ; implicit-def: $vgpr10_vgpr11
	s_mov_b32 s0, exec_lo
	v_cmpx_ne_u64_e32 0, v[2:3]
	s_xor_b32 s55, exec_lo, s0
	s_cbranch_execz .LBB18_17
; %bb.16:                               ;   in Loop: Header=BB18_3 Depth=1
	s_ashr_i32 s56, s43, 31
	v_dual_mov_b32 v19, v2 :: v_dual_ashrrev_i32 v10, 31, v15
	s_mov_b32 s57, s56
	v_mov_b32_e32 v23, v2
	s_add_nc_u64 s[58:59], s[42:43], s[56:57]
	s_delay_alu instid0(VALU_DEP_2)
	v_mov_b32_e32 v11, v10
	s_xor_b64 s[56:57], s[58:59], s[56:57]
	v_mov_b32_e32 v27, v2
	s_cvt_f32_u32 s0, s56
	s_cvt_f32_u32 s34, s57
	s_sub_nc_u64 s[62:63], 0, s[56:57]
	v_add_nc_u64_e32 v[14:15], v[14:15], v[10:11]
	s_delay_alu instid0(SALU_CYCLE_1) | instskip(NEXT) | instid1(SALU_CYCLE_3)
	s_fmamk_f32 s0, s34, 0x4f800000, s0
	v_s_rcp_f32 s0, s0
	s_delay_alu instid0(VALU_DEP_1) | instskip(NEXT) | instid1(VALU_DEP_2)
	v_xor_b32_e32 v18, v14, v10
	v_xor_b32_e32 v22, v15, v10
	s_delay_alu instid0(TRANS32_DEP_1) | instskip(NEXT) | instid1(SALU_CYCLE_3)
	s_mul_f32 s0, s0, 0x5f7ffffc
	s_mul_f32 s34, s0, 0x2f800000
	s_delay_alu instid0(SALU_CYCLE_3) | instskip(NEXT) | instid1(SALU_CYCLE_3)
	s_trunc_f32 s34, s34
	s_fmamk_f32 s0, s34, 0xcf800000, s0
	s_cvt_u32_f32 s59, s34
	s_delay_alu instid0(SALU_CYCLE_2) | instskip(NEXT) | instid1(SALU_CYCLE_3)
	s_cvt_u32_f32 s58, s0
	s_mul_u64 s[64:65], s[62:63], s[58:59]
	s_delay_alu instid0(SALU_CYCLE_1)
	s_mul_hi_u32 s67, s58, s65
	s_mul_i32 s66, s58, s65
	s_mul_hi_u32 s34, s58, s64
	s_mul_i32 s68, s59, s64
	s_add_nc_u64 s[66:67], s[34:35], s[66:67]
	s_mul_hi_u32 s0, s59, s64
	s_mul_hi_u32 s69, s59, s65
	s_add_co_u32 s34, s66, s68
	s_add_co_ci_u32 s34, s67, s0
	s_mul_i32 s64, s59, s65
	s_add_co_ci_u32 s65, s69, 0
	s_delay_alu instid0(SALU_CYCLE_1) | instskip(NEXT) | instid1(SALU_CYCLE_1)
	s_add_nc_u64 s[64:65], s[34:35], s[64:65]
	s_add_co_u32 s58, s58, s64
	s_cselect_b32 s0, -1, 0
	s_delay_alu instid0(SALU_CYCLE_1) | instskip(SKIP_1) | instid1(SALU_CYCLE_1)
	s_cmp_lg_u32 s0, 0
	s_add_co_ci_u32 s59, s59, s65
	s_mul_u64 s[62:63], s[62:63], s[58:59]
	s_delay_alu instid0(SALU_CYCLE_1)
	s_mul_hi_u32 s65, s58, s63
	s_mul_i32 s64, s58, s63
	s_mul_hi_u32 s34, s58, s62
	s_mul_i32 s66, s59, s62
	s_add_nc_u64 s[64:65], s[34:35], s[64:65]
	s_mul_hi_u32 s0, s59, s62
	s_mul_hi_u32 s67, s59, s63
	s_add_co_u32 s34, s64, s66
	s_add_co_ci_u32 s34, s65, s0
	s_mul_i32 s62, s59, s63
	s_add_co_ci_u32 s63, s67, 0
	s_delay_alu instid0(SALU_CYCLE_1) | instskip(NEXT) | instid1(SALU_CYCLE_1)
	s_add_nc_u64 s[62:63], s[34:35], s[62:63]
	s_add_co_u32 s0, s58, s62
	s_cselect_b32 s34, -1, 0
	v_mul_hi_u32 v26, v18, s0
	s_cmp_lg_u32 s34, 0
	s_add_co_ci_u32 s34, s59, s63
	s_and_b64 s[58:59], s[0:1], s[50:51]
	v_mul_u64_e32 v[20:21], s[34:35], v[18:19]
	v_mul_u64_e32 v[14:15], s[58:59], v[22:23]
	;; [unrolled: 1-line block ×3, first 2 shown]
	s_delay_alu instid0(VALU_DEP_3) | instskip(NEXT) | instid1(VALU_DEP_1)
	v_add_nc_u64_e32 v[20:21], v[26:27], v[20:21]
	v_add_co_u32 v3, vcc_lo, v20, v14
	s_delay_alu instid0(VALU_DEP_2) | instskip(NEXT) | instid1(VALU_DEP_4)
	v_add_co_ci_u32_e32 v26, vcc_lo, v21, v15, vcc_lo
	v_add_co_ci_u32_e32 v25, vcc_lo, 0, v25, vcc_lo
	s_delay_alu instid0(VALU_DEP_1) | instskip(NEXT) | instid1(VALU_DEP_1)
	v_add_nc_u64_e32 v[14:15], v[26:27], v[24:25]
	v_mul_u64_e32 v[14:15], s[56:57], v[14:15]
	s_delay_alu instid0(VALU_DEP_1) | instskip(NEXT) | instid1(VALU_DEP_2)
	v_sub_nc_u32_e32 v3, v22, v15
	v_sub_co_u32 v14, vcc_lo, v18, v14
	s_delay_alu instid0(VALU_DEP_1) | instskip(NEXT) | instid1(VALU_DEP_3)
	v_sub_co_ci_u32_e64 v15, null, v22, v15, vcc_lo
	v_subrev_co_ci_u32_e64 v3, null, s57, v3, vcc_lo
	s_delay_alu instid0(VALU_DEP_3) | instskip(SKIP_1) | instid1(VALU_DEP_3)
	v_sub_co_u32 v17, vcc_lo, v14, s56
	v_cmp_le_u32_e64 s0, s56, v14
	v_subrev_co_ci_u32_e64 v18, null, 0, v3, vcc_lo
	v_subrev_co_ci_u32_e64 v3, null, s57, v3, vcc_lo
	s_delay_alu instid0(VALU_DEP_3) | instskip(SKIP_2) | instid1(VALU_DEP_2)
	v_cndmask_b32_e64 v19, 0, -1, s0
	v_cmp_le_u32_e64 s0, s56, v17
	v_cmp_le_u32_e32 vcc_lo, s57, v15
	v_cndmask_b32_e64 v20, 0, -1, s0
	v_cmp_le_u32_e64 s0, s57, v18
	v_cndmask_b32_e64 v22, 0, -1, vcc_lo
	v_cmp_eq_u32_e32 vcc_lo, s57, v18
	s_delay_alu instid0(VALU_DEP_3) | instskip(SKIP_1) | instid1(VALU_DEP_2)
	v_cndmask_b32_e64 v21, 0, -1, s0
	v_cmp_eq_u32_e64 s0, s57, v15
	v_cndmask_b32_e32 v20, v21, v20, vcc_lo
	v_sub_co_u32 v21, vcc_lo, v17, s56
	s_delay_alu instid0(VALU_DEP_1) | instskip(NEXT) | instid1(VALU_DEP_3)
	v_subrev_co_ci_u32_e64 v3, null, 0, v3, vcc_lo
	v_cmp_ne_u32_e32 vcc_lo, 0, v20
	v_cndmask_b32_e64 v19, v22, v19, s0
	s_delay_alu instid0(VALU_DEP_3) | instskip(NEXT) | instid1(VALU_DEP_2)
	v_dual_cndmask_b32 v3, v18, v3, vcc_lo :: v_dual_cndmask_b32 v17, v17, v21, vcc_lo
	v_cmp_ne_u32_e32 vcc_lo, 0, v19
	s_delay_alu instid0(VALU_DEP_2) | instskip(NEXT) | instid1(VALU_DEP_1)
	v_dual_cndmask_b32 v3, v15, v3 :: v_dual_cndmask_b32 v14, v14, v17
	v_xor_b32_e32 v15, v3, v10
	s_delay_alu instid0(VALU_DEP_2) | instskip(NEXT) | instid1(VALU_DEP_1)
	v_xor_b32_e32 v14, v14, v10
	v_sub_nc_u64_e32 v[10:11], v[14:15], v[10:11]
                                        ; implicit-def: $vgpr14_vgpr15
.LBB18_17:                              ;   in Loop: Header=BB18_3 Depth=1
	s_and_not1_saveexec_b32 s0, s55
	s_cbranch_execz .LBB18_19
; %bb.18:                               ;   in Loop: Header=BB18_3 Depth=1
	v_cvt_f32_u32_e32 v3, s42
	s_sub_co_i32 s34, 0, s42
	v_mov_b32_e32 v11, v2
	s_delay_alu instid0(VALU_DEP_2) | instskip(SKIP_1) | instid1(TRANS32_DEP_1)
	v_rcp_iflag_f32_e32 v3, v3
	v_nop
	v_mul_f32_e32 v3, 0x4f7ffffe, v3
	s_delay_alu instid0(VALU_DEP_1) | instskip(NEXT) | instid1(VALU_DEP_1)
	v_cvt_u32_f32_e32 v3, v3
	v_mul_lo_u32 v10, s34, v3
	s_delay_alu instid0(VALU_DEP_1) | instskip(NEXT) | instid1(VALU_DEP_1)
	v_mul_hi_u32 v10, v3, v10
	v_add_nc_u32_e32 v3, v3, v10
	s_delay_alu instid0(VALU_DEP_1) | instskip(NEXT) | instid1(VALU_DEP_1)
	v_mul_hi_u32 v3, v14, v3
	v_mul_lo_u32 v3, v3, s42
	s_delay_alu instid0(VALU_DEP_1) | instskip(NEXT) | instid1(VALU_DEP_1)
	v_sub_nc_u32_e32 v3, v14, v3
	v_subrev_nc_u32_e32 v10, s42, v3
	v_cmp_le_u32_e32 vcc_lo, s42, v3
	s_delay_alu instid0(VALU_DEP_2) | instskip(NEXT) | instid1(VALU_DEP_1)
	v_cndmask_b32_e32 v3, v3, v10, vcc_lo
	v_subrev_nc_u32_e32 v10, s42, v3
	v_cmp_le_u32_e32 vcc_lo, s42, v3
	s_delay_alu instid0(VALU_DEP_2)
	v_cndmask_b32_e32 v10, v3, v10, vcc_lo
.LBB18_19:                              ;   in Loop: Header=BB18_3 Depth=1
	s_or_b32 exec_lo, exec_lo, s0
	v_mul_u64_e32 v[8:9], s[28:29], v[8:9]
	v_mul_u64_e32 v[14:15], s[6:7], v[12:13]
	s_delay_alu instid0(VALU_DEP_3) | instskip(SKIP_3) | instid1(VALU_DEP_3)
	v_mul_u64_e32 v[18:19], s[8:9], v[10:11]
	s_mov_b32 s34, -1
	s_mov_b32 s56, -1
	s_mov_b32 s55, exec_lo
	v_sub_nc_u64_e32 v[6:7], v[6:7], v[8:9]
	s_delay_alu instid0(VALU_DEP_1) | instskip(NEXT) | instid1(VALU_DEP_1)
	v_mul_u64_e32 v[8:9], s[4:5], v[6:7]
	v_lshl_add_u64 v[8:9], v[8:9], 3, s[40:41]
	s_delay_alu instid0(VALU_DEP_1) | instskip(NEXT) | instid1(VALU_DEP_1)
	v_lshl_add_u64 v[8:9], v[14:15], 3, v[8:9]
	v_lshl_add_u64 v[8:9], v[18:19], 3, v[8:9]
	global_load_b64 v[8:9], v[8:9], off
	s_wait_loadcnt 0x0
	s_wait_xcnt 0x0
	v_cmpx_ne_u64_e64 s[38:39], v[8:9]
	s_cbranch_execz .LBB18_26
; %bb.20:                               ;   in Loop: Header=BB18_3 Depth=1
	v_cmp_lt_i64_e32 vcc_lo, -1, v[8:9]
	v_cmp_gt_i64_e64 s0, s[44:45], v[8:9]
	s_mov_b32 s56, 0
	s_and_b32 s57, vcc_lo, s0
	s_delay_alu instid0(SALU_CYCLE_1)
	s_and_saveexec_b32 s0, s57
	s_cbranch_execz .LBB18_25
; %bb.21:                               ;   in Loop: Header=BB18_3 Depth=1
	s_and_not1_b32 vcc_lo, exec_lo, s1
	s_cbranch_vccnz .LBB18_23
; %bb.22:                               ;   in Loop: Header=BB18_3 Depth=1
	v_lshl_add_u64 v[14:15], v[8:9], 1, s[36:37]
	global_load_u16 v3, v[14:15], off
	s_branch .LBB18_24
.LBB18_23:                              ;   in Loop: Header=BB18_3 Depth=1
	v_mov_b32_e32 v3, 0x3c00
.LBB18_24:                              ;   in Loop: Header=BB18_3 Depth=1
	s_wait_xcnt 0x0
	v_mul_u64_e32 v[14:15], s[12:13], v[6:7]
	v_mul_u64_e32 v[18:19], s[14:15], v[12:13]
	;; [unrolled: 1-line block ×7, first 2 shown]
	s_mov_b32 s56, exec_lo
	v_lshl_add_u64 v[14:15], v[14:15], 1, s[10:11]
	v_lshl_add_u64 v[6:7], v[6:7], 1, s[18:19]
	s_delay_alu instid0(VALU_DEP_2) | instskip(NEXT) | instid1(VALU_DEP_2)
	v_lshl_add_u64 v[14:15], v[18:19], 1, v[14:15]
	v_lshl_add_u64 v[6:7], v[8:9], 1, v[6:7]
	s_delay_alu instid0(VALU_DEP_2) | instskip(NEXT) | instid1(VALU_DEP_2)
	v_lshl_add_u64 v[14:15], v[20:21], 1, v[14:15]
	v_lshl_add_u64 v[6:7], v[12:13], 1, v[6:7]
	global_load_u16 v14, v[14:15], off
	v_lshl_add_u64 v[6:7], v[10:11], 1, v[6:7]
	s_wait_loadcnt 0x0
	v_mul_f16_e64 v3, v14, -v3
	global_store_b16 v[6:7], v3, off
.LBB18_25:                              ;   in Loop: Header=BB18_3 Depth=1
	s_wait_xcnt 0x0
	s_or_b32 exec_lo, exec_lo, s0
	s_delay_alu instid0(SALU_CYCLE_1)
	s_or_not1_b32 s56, s56, exec_lo
.LBB18_26:                              ;   in Loop: Header=BB18_3 Depth=1
	s_or_b32 exec_lo, exec_lo, s55
	s_delay_alu instid0(SALU_CYCLE_1)
	s_or_b32 s61, s61, exec_lo
	s_and_saveexec_b32 s0, s56
	s_cbranch_execz .LBB18_2
; %bb.27:                               ;   in Loop: Header=BB18_3 Depth=1
	v_add_nc_u64_e32 v[0:1], s[46:47], v[0:1]
	v_add_nc_u64_e32 v[4:5], s[48:49], v[4:5]
	s_and_not1_b32 s61, s61, exec_lo
	s_delay_alu instid0(VALU_DEP_2)
	v_cmp_le_i64_e32 vcc_lo, s[2:3], v[0:1]
	s_or_not1_b32 s34, vcc_lo, exec_lo
	s_branch .LBB18_2
.LBB18_28:
	s_or_b32 exec_lo, exec_lo, s33
	s_and_saveexec_b32 s0, s60
	s_delay_alu instid0(SALU_CYCLE_1)
	s_xor_b32 s0, exec_lo, s0
	s_cbranch_execnz .LBB18_30
.LBB18_29:
	s_endpgm
.LBB18_30:
	s_trap 2
	; divergent unreachable
	s_endpgm
	.section	.rodata,"a",@progbits
	.p2align	6, 0x0
	.amdhsa_kernel _ZN2at6native12_GLOBAL__N_136nll_loss2d_backward_no_reduce_kernelIN3c104HalfEEEvlN5torch10headeronly6detail27GenericPackedTensorAccessorINS7_14TensorAccessorINS3_8ArrayRefIlEElLm2ENS6_16DefaultPtrTraitsElEENS_6detail16IndexBoundsCheckILm3ElEElLm3ESC_lEENS8_INS9_ISB_T_Lm2ESC_lEESG_SI_Lm3ESC_lEENS8_INS9_ISB_SI_Lm3ESC_lEENSF_ILm4ElEESI_Lm4ESC_lEEPKSI_l
		.amdhsa_group_segment_fixed_size 0
		.amdhsa_private_segment_fixed_size 0
		.amdhsa_kernarg_size 464
		.amdhsa_user_sgpr_count 2
		.amdhsa_user_sgpr_dispatch_ptr 0
		.amdhsa_user_sgpr_queue_ptr 0
		.amdhsa_user_sgpr_kernarg_segment_ptr 1
		.amdhsa_user_sgpr_dispatch_id 0
		.amdhsa_user_sgpr_kernarg_preload_length 0
		.amdhsa_user_sgpr_kernarg_preload_offset 0
		.amdhsa_user_sgpr_private_segment_size 0
		.amdhsa_wavefront_size32 1
		.amdhsa_uses_dynamic_stack 0
		.amdhsa_enable_private_segment 0
		.amdhsa_system_sgpr_workgroup_id_x 1
		.amdhsa_system_sgpr_workgroup_id_y 0
		.amdhsa_system_sgpr_workgroup_id_z 0
		.amdhsa_system_sgpr_workgroup_info 0
		.amdhsa_system_vgpr_workitem_id 0
		.amdhsa_next_free_vgpr 28
		.amdhsa_next_free_sgpr 71
		.amdhsa_named_barrier_count 0
		.amdhsa_reserve_vcc 1
		.amdhsa_float_round_mode_32 0
		.amdhsa_float_round_mode_16_64 0
		.amdhsa_float_denorm_mode_32 3
		.amdhsa_float_denorm_mode_16_64 3
		.amdhsa_fp16_overflow 0
		.amdhsa_memory_ordered 1
		.amdhsa_forward_progress 1
		.amdhsa_inst_pref_size 29
		.amdhsa_round_robin_scheduling 0
		.amdhsa_exception_fp_ieee_invalid_op 0
		.amdhsa_exception_fp_denorm_src 0
		.amdhsa_exception_fp_ieee_div_zero 0
		.amdhsa_exception_fp_ieee_overflow 0
		.amdhsa_exception_fp_ieee_underflow 0
		.amdhsa_exception_fp_ieee_inexact 0
		.amdhsa_exception_int_div_zero 0
	.end_amdhsa_kernel
	.section	.text._ZN2at6native12_GLOBAL__N_136nll_loss2d_backward_no_reduce_kernelIN3c104HalfEEEvlN5torch10headeronly6detail27GenericPackedTensorAccessorINS7_14TensorAccessorINS3_8ArrayRefIlEElLm2ENS6_16DefaultPtrTraitsElEENS_6detail16IndexBoundsCheckILm3ElEElLm3ESC_lEENS8_INS9_ISB_T_Lm2ESC_lEESG_SI_Lm3ESC_lEENS8_INS9_ISB_SI_Lm3ESC_lEENSF_ILm4ElEESI_Lm4ESC_lEEPKSI_l,"axG",@progbits,_ZN2at6native12_GLOBAL__N_136nll_loss2d_backward_no_reduce_kernelIN3c104HalfEEEvlN5torch10headeronly6detail27GenericPackedTensorAccessorINS7_14TensorAccessorINS3_8ArrayRefIlEElLm2ENS6_16DefaultPtrTraitsElEENS_6detail16IndexBoundsCheckILm3ElEElLm3ESC_lEENS8_INS9_ISB_T_Lm2ESC_lEESG_SI_Lm3ESC_lEENS8_INS9_ISB_SI_Lm3ESC_lEENSF_ILm4ElEESI_Lm4ESC_lEEPKSI_l,comdat
.Lfunc_end18:
	.size	_ZN2at6native12_GLOBAL__N_136nll_loss2d_backward_no_reduce_kernelIN3c104HalfEEEvlN5torch10headeronly6detail27GenericPackedTensorAccessorINS7_14TensorAccessorINS3_8ArrayRefIlEElLm2ENS6_16DefaultPtrTraitsElEENS_6detail16IndexBoundsCheckILm3ElEElLm3ESC_lEENS8_INS9_ISB_T_Lm2ESC_lEESG_SI_Lm3ESC_lEENS8_INS9_ISB_SI_Lm3ESC_lEENSF_ILm4ElEESI_Lm4ESC_lEEPKSI_l, .Lfunc_end18-_ZN2at6native12_GLOBAL__N_136nll_loss2d_backward_no_reduce_kernelIN3c104HalfEEEvlN5torch10headeronly6detail27GenericPackedTensorAccessorINS7_14TensorAccessorINS3_8ArrayRefIlEElLm2ENS6_16DefaultPtrTraitsElEENS_6detail16IndexBoundsCheckILm3ElEElLm3ESC_lEENS8_INS9_ISB_T_Lm2ESC_lEESG_SI_Lm3ESC_lEENS8_INS9_ISB_SI_Lm3ESC_lEENSF_ILm4ElEESI_Lm4ESC_lEEPKSI_l
                                        ; -- End function
	.set _ZN2at6native12_GLOBAL__N_136nll_loss2d_backward_no_reduce_kernelIN3c104HalfEEEvlN5torch10headeronly6detail27GenericPackedTensorAccessorINS7_14TensorAccessorINS3_8ArrayRefIlEElLm2ENS6_16DefaultPtrTraitsElEENS_6detail16IndexBoundsCheckILm3ElEElLm3ESC_lEENS8_INS9_ISB_T_Lm2ESC_lEESG_SI_Lm3ESC_lEENS8_INS9_ISB_SI_Lm3ESC_lEENSF_ILm4ElEESI_Lm4ESC_lEEPKSI_l.num_vgpr, 28
	.set _ZN2at6native12_GLOBAL__N_136nll_loss2d_backward_no_reduce_kernelIN3c104HalfEEEvlN5torch10headeronly6detail27GenericPackedTensorAccessorINS7_14TensorAccessorINS3_8ArrayRefIlEElLm2ENS6_16DefaultPtrTraitsElEENS_6detail16IndexBoundsCheckILm3ElEElLm3ESC_lEENS8_INS9_ISB_T_Lm2ESC_lEESG_SI_Lm3ESC_lEENS8_INS9_ISB_SI_Lm3ESC_lEENSF_ILm4ElEESI_Lm4ESC_lEEPKSI_l.num_agpr, 0
	.set _ZN2at6native12_GLOBAL__N_136nll_loss2d_backward_no_reduce_kernelIN3c104HalfEEEvlN5torch10headeronly6detail27GenericPackedTensorAccessorINS7_14TensorAccessorINS3_8ArrayRefIlEElLm2ENS6_16DefaultPtrTraitsElEENS_6detail16IndexBoundsCheckILm3ElEElLm3ESC_lEENS8_INS9_ISB_T_Lm2ESC_lEESG_SI_Lm3ESC_lEENS8_INS9_ISB_SI_Lm3ESC_lEENSF_ILm4ElEESI_Lm4ESC_lEEPKSI_l.numbered_sgpr, 71
	.set _ZN2at6native12_GLOBAL__N_136nll_loss2d_backward_no_reduce_kernelIN3c104HalfEEEvlN5torch10headeronly6detail27GenericPackedTensorAccessorINS7_14TensorAccessorINS3_8ArrayRefIlEElLm2ENS6_16DefaultPtrTraitsElEENS_6detail16IndexBoundsCheckILm3ElEElLm3ESC_lEENS8_INS9_ISB_T_Lm2ESC_lEESG_SI_Lm3ESC_lEENS8_INS9_ISB_SI_Lm3ESC_lEENSF_ILm4ElEESI_Lm4ESC_lEEPKSI_l.num_named_barrier, 0
	.set _ZN2at6native12_GLOBAL__N_136nll_loss2d_backward_no_reduce_kernelIN3c104HalfEEEvlN5torch10headeronly6detail27GenericPackedTensorAccessorINS7_14TensorAccessorINS3_8ArrayRefIlEElLm2ENS6_16DefaultPtrTraitsElEENS_6detail16IndexBoundsCheckILm3ElEElLm3ESC_lEENS8_INS9_ISB_T_Lm2ESC_lEESG_SI_Lm3ESC_lEENS8_INS9_ISB_SI_Lm3ESC_lEENSF_ILm4ElEESI_Lm4ESC_lEEPKSI_l.private_seg_size, 0
	.set _ZN2at6native12_GLOBAL__N_136nll_loss2d_backward_no_reduce_kernelIN3c104HalfEEEvlN5torch10headeronly6detail27GenericPackedTensorAccessorINS7_14TensorAccessorINS3_8ArrayRefIlEElLm2ENS6_16DefaultPtrTraitsElEENS_6detail16IndexBoundsCheckILm3ElEElLm3ESC_lEENS8_INS9_ISB_T_Lm2ESC_lEESG_SI_Lm3ESC_lEENS8_INS9_ISB_SI_Lm3ESC_lEENSF_ILm4ElEESI_Lm4ESC_lEEPKSI_l.uses_vcc, 1
	.set _ZN2at6native12_GLOBAL__N_136nll_loss2d_backward_no_reduce_kernelIN3c104HalfEEEvlN5torch10headeronly6detail27GenericPackedTensorAccessorINS7_14TensorAccessorINS3_8ArrayRefIlEElLm2ENS6_16DefaultPtrTraitsElEENS_6detail16IndexBoundsCheckILm3ElEElLm3ESC_lEENS8_INS9_ISB_T_Lm2ESC_lEESG_SI_Lm3ESC_lEENS8_INS9_ISB_SI_Lm3ESC_lEENSF_ILm4ElEESI_Lm4ESC_lEEPKSI_l.uses_flat_scratch, 0
	.set _ZN2at6native12_GLOBAL__N_136nll_loss2d_backward_no_reduce_kernelIN3c104HalfEEEvlN5torch10headeronly6detail27GenericPackedTensorAccessorINS7_14TensorAccessorINS3_8ArrayRefIlEElLm2ENS6_16DefaultPtrTraitsElEENS_6detail16IndexBoundsCheckILm3ElEElLm3ESC_lEENS8_INS9_ISB_T_Lm2ESC_lEESG_SI_Lm3ESC_lEENS8_INS9_ISB_SI_Lm3ESC_lEENSF_ILm4ElEESI_Lm4ESC_lEEPKSI_l.has_dyn_sized_stack, 0
	.set _ZN2at6native12_GLOBAL__N_136nll_loss2d_backward_no_reduce_kernelIN3c104HalfEEEvlN5torch10headeronly6detail27GenericPackedTensorAccessorINS7_14TensorAccessorINS3_8ArrayRefIlEElLm2ENS6_16DefaultPtrTraitsElEENS_6detail16IndexBoundsCheckILm3ElEElLm3ESC_lEENS8_INS9_ISB_T_Lm2ESC_lEESG_SI_Lm3ESC_lEENS8_INS9_ISB_SI_Lm3ESC_lEENSF_ILm4ElEESI_Lm4ESC_lEEPKSI_l.has_recursion, 0
	.set _ZN2at6native12_GLOBAL__N_136nll_loss2d_backward_no_reduce_kernelIN3c104HalfEEEvlN5torch10headeronly6detail27GenericPackedTensorAccessorINS7_14TensorAccessorINS3_8ArrayRefIlEElLm2ENS6_16DefaultPtrTraitsElEENS_6detail16IndexBoundsCheckILm3ElEElLm3ESC_lEENS8_INS9_ISB_T_Lm2ESC_lEESG_SI_Lm3ESC_lEENS8_INS9_ISB_SI_Lm3ESC_lEENSF_ILm4ElEESI_Lm4ESC_lEEPKSI_l.has_indirect_call, 0
	.section	.AMDGPU.csdata,"",@progbits
; Kernel info:
; codeLenInByte = 3688
; TotalNumSgprs: 73
; NumVgprs: 28
; ScratchSize: 0
; MemoryBound: 0
; FloatMode: 240
; IeeeMode: 1
; LDSByteSize: 0 bytes/workgroup (compile time only)
; SGPRBlocks: 0
; VGPRBlocks: 1
; NumSGPRsForWavesPerEU: 73
; NumVGPRsForWavesPerEU: 28
; NamedBarCnt: 0
; Occupancy: 16
; WaveLimiterHint : 1
; COMPUTE_PGM_RSRC2:SCRATCH_EN: 0
; COMPUTE_PGM_RSRC2:USER_SGPR: 2
; COMPUTE_PGM_RSRC2:TRAP_HANDLER: 0
; COMPUTE_PGM_RSRC2:TGID_X_EN: 1
; COMPUTE_PGM_RSRC2:TGID_Y_EN: 0
; COMPUTE_PGM_RSRC2:TGID_Z_EN: 0
; COMPUTE_PGM_RSRC2:TIDIG_COMP_CNT: 0
	.section	.text._ZN2at6native12_GLOBAL__N_136nll_loss2d_backward_no_reduce_kernelIN3c108BFloat16EEEvlN5torch10headeronly6detail27GenericPackedTensorAccessorINS7_14TensorAccessorINS3_8ArrayRefIlEElLm2ENS6_16DefaultPtrTraitsElEENS_6detail16IndexBoundsCheckILm3ElEElLm3ESC_lEENS8_INS9_ISB_T_Lm2ESC_lEESG_SI_Lm3ESC_lEENS8_INS9_ISB_SI_Lm3ESC_lEENSF_ILm4ElEESI_Lm4ESC_lEEPKSI_l,"axG",@progbits,_ZN2at6native12_GLOBAL__N_136nll_loss2d_backward_no_reduce_kernelIN3c108BFloat16EEEvlN5torch10headeronly6detail27GenericPackedTensorAccessorINS7_14TensorAccessorINS3_8ArrayRefIlEElLm2ENS6_16DefaultPtrTraitsElEENS_6detail16IndexBoundsCheckILm3ElEElLm3ESC_lEENS8_INS9_ISB_T_Lm2ESC_lEESG_SI_Lm3ESC_lEENS8_INS9_ISB_SI_Lm3ESC_lEENSF_ILm4ElEESI_Lm4ESC_lEEPKSI_l,comdat
	.globl	_ZN2at6native12_GLOBAL__N_136nll_loss2d_backward_no_reduce_kernelIN3c108BFloat16EEEvlN5torch10headeronly6detail27GenericPackedTensorAccessorINS7_14TensorAccessorINS3_8ArrayRefIlEElLm2ENS6_16DefaultPtrTraitsElEENS_6detail16IndexBoundsCheckILm3ElEElLm3ESC_lEENS8_INS9_ISB_T_Lm2ESC_lEESG_SI_Lm3ESC_lEENS8_INS9_ISB_SI_Lm3ESC_lEENSF_ILm4ElEESI_Lm4ESC_lEEPKSI_l ; -- Begin function _ZN2at6native12_GLOBAL__N_136nll_loss2d_backward_no_reduce_kernelIN3c108BFloat16EEEvlN5torch10headeronly6detail27GenericPackedTensorAccessorINS7_14TensorAccessorINS3_8ArrayRefIlEElLm2ENS6_16DefaultPtrTraitsElEENS_6detail16IndexBoundsCheckILm3ElEElLm3ESC_lEENS8_INS9_ISB_T_Lm2ESC_lEESG_SI_Lm3ESC_lEENS8_INS9_ISB_SI_Lm3ESC_lEENSF_ILm4ElEESI_Lm4ESC_lEEPKSI_l
	.p2align	8
	.type	_ZN2at6native12_GLOBAL__N_136nll_loss2d_backward_no_reduce_kernelIN3c108BFloat16EEEvlN5torch10headeronly6detail27GenericPackedTensorAccessorINS7_14TensorAccessorINS3_8ArrayRefIlEElLm2ENS6_16DefaultPtrTraitsElEENS_6detail16IndexBoundsCheckILm3ElEElLm3ESC_lEENS8_INS9_ISB_T_Lm2ESC_lEESG_SI_Lm3ESC_lEENS8_INS9_ISB_SI_Lm3ESC_lEENSF_ILm4ElEESI_Lm4ESC_lEEPKSI_l,@function
_ZN2at6native12_GLOBAL__N_136nll_loss2d_backward_no_reduce_kernelIN3c108BFloat16EEEvlN5torch10headeronly6detail27GenericPackedTensorAccessorINS7_14TensorAccessorINS3_8ArrayRefIlEElLm2ENS6_16DefaultPtrTraitsElEENS_6detail16IndexBoundsCheckILm3ElEElLm3ESC_lEENS8_INS9_ISB_T_Lm2ESC_lEESG_SI_Lm3ESC_lEENS8_INS9_ISB_SI_Lm3ESC_lEENSF_ILm4ElEESI_Lm4ESC_lEEPKSI_l: ; @_ZN2at6native12_GLOBAL__N_136nll_loss2d_backward_no_reduce_kernelIN3c108BFloat16EEEvlN5torch10headeronly6detail27GenericPackedTensorAccessorINS7_14TensorAccessorINS3_8ArrayRefIlEElLm2ENS6_16DefaultPtrTraitsElEENS_6detail16IndexBoundsCheckILm3ElEElLm3ESC_lEENS8_INS9_ISB_T_Lm2ESC_lEESG_SI_Lm3ESC_lEENS8_INS9_ISB_SI_Lm3ESC_lEENSF_ILm4ElEESI_Lm4ESC_lEEPKSI_l
; %bb.0:
	s_clause 0x1
	s_load_b32 s4, s[0:1], 0xdc
	s_load_b64 s[2:3], s[0:1], 0x0
	s_bfe_u32 s5, ttmp6, 0x4000c
	v_mov_b32_e32 v2, 0
	s_add_co_i32 s5, s5, 1
	s_and_b32 s6, ttmp6, 15
	s_mul_i32 s5, ttmp9, s5
	s_getreg_b32 s7, hwreg(HW_REG_IB_STS2, 6, 4)
	v_mov_b32_e32 v1, v2
	s_add_co_i32 s6, s6, s5
	s_mov_b32 s35, 0
	s_wait_kmcnt 0x0
	s_and_b32 s33, s4, 0xffff
	s_cmp_eq_u32 s7, 0
	s_cselect_b32 s4, ttmp9, s6
	s_delay_alu instid0(SALU_CYCLE_1) | instskip(SKIP_1) | instid1(VALU_DEP_1)
	v_mad_nc_u64_u32 v[0:1], s33, s4, v[0:1]
	s_mov_b32 s4, exec_lo
	v_cmpx_gt_i64_e64 s[2:3], v[0:1]
	s_cbranch_execz .LBB19_29
; %bb.1:
	s_clause 0x1
	s_load_b128 s[28:31], s[0:1], 0x10
	s_load_b128 s[36:39], s[0:1], 0xc0
	s_add_nc_u64 s[12:13], s[0:1], 0xd0
	s_load_b32 s34, s[12:13], 0x0
	s_clause 0x3
	s_load_b64 s[40:41], s[0:1], 0x8
	s_load_b64 s[42:43], s[0:1], 0x20
	s_load_b256 s[4:11], s[0:1], 0x28
	s_load_b64 s[44:45], s[0:1], 0x88
	s_wait_xcnt 0x0
	s_clause 0x1
	s_load_b256 s[12:19], s[0:1], 0x60
	s_load_b256 s[20:27], s[0:1], 0xa0
	s_mov_b32 s47, s35
	s_mov_b32 s48, s35
	s_mov_b64 s[50:51], 0xffffffff
                                        ; implicit-def: $sgpr60
                                        ; implicit-def: $sgpr61
	s_wait_kmcnt 0x0
	v_cvt_f32_u32_e32 v3, s28
	s_cmp_lg_u64 s[36:37], 0
	s_mul_i32 s46, s34, s33
	s_mul_u64 s[52:53], s[30:31], s[28:29]
	s_cselect_b32 s1, -1, 0
	v_rcp_iflag_f32_e32 v4, v3
	v_nop
	v_mov_b32_e32 v3, v0
	s_mov_b32 s49, s46
	s_ashr_i32 s54, s29, 31
	s_mov_b32 s33, 0
	s_delay_alu instid0(TRANS32_DEP_1) | instskip(NEXT) | instid1(VALU_DEP_1)
	v_mul_f32_e32 v4, 0x4f7ffffe, v4
	v_cvt_u32_f32_e32 v16, v4
	v_mov_b64_e32 v[4:5], v[2:3]
	s_branch .LBB19_3
.LBB19_2:                               ;   in Loop: Header=BB19_3 Depth=1
	s_or_b32 exec_lo, exec_lo, s0
	s_delay_alu instid0(SALU_CYCLE_1) | instskip(NEXT) | instid1(SALU_CYCLE_1)
	s_and_b32 s0, exec_lo, s34
	s_or_b32 s33, s0, s33
	s_and_not1_b32 s0, s60, exec_lo
	s_and_b32 s34, s61, exec_lo
	s_delay_alu instid0(SALU_CYCLE_1)
	s_or_b32 s60, s0, s34
	s_and_not1_b32 exec_lo, exec_lo, s33
	s_cbranch_execz .LBB19_28
.LBB19_3:                               ; =>This Inner Loop Header: Depth=1
	s_delay_alu instid0(VALU_DEP_1) | instskip(SKIP_1) | instid1(VALU_DEP_1)
	v_dual_mov_b32 v6, v5 :: v_dual_ashrrev_i32 v7, 31, v5
                                        ; implicit-def: $vgpr8_vgpr9
	s_mov_b32 s0, exec_lo
	v_dual_ashrrev_i32 v10, 31, v7 :: v_dual_bitop2_b32 v3, s29, v7 bitop3:0x54
	s_delay_alu instid0(VALU_DEP_1)
	v_cmpx_ne_u64_e32 0, v[2:3]
	s_xor_b32 s58, exec_lo, s0
	s_cbranch_execz .LBB19_5
; %bb.4:                                ;   in Loop: Header=BB19_3 Depth=1
	s_mov_b32 s55, s54
	v_dual_mov_b32 v11, v10 :: v_dual_mov_b32 v13, v2
	s_add_nc_u64 s[56:57], s[28:29], s[54:55]
	v_mov_b32_e32 v19, v2
	s_xor_b64 s[56:57], s[56:57], s[54:55]
	s_delay_alu instid0(VALU_DEP_2) | instskip(SKIP_4) | instid1(SALU_CYCLE_1)
	v_add_nc_u64_e32 v[8:9], v[6:7], v[10:11]
	s_cvt_f32_u32 s0, s56
	s_cvt_f32_u32 s34, s57
	s_sub_nc_u64 s[64:65], 0, s[56:57]
	v_mov_b32_e32 v23, v2
	s_fmamk_f32 s0, s34, 0x4f800000, s0
	s_delay_alu instid0(VALU_DEP_2) | instskip(SKIP_1) | instid1(SALU_CYCLE_1)
	v_xor_b32_e32 v12, v8, v10
	v_xor_b32_e32 v18, v9, v10
	v_s_rcp_f32 s0, s0
	s_delay_alu instid0(TRANS32_DEP_1) | instskip(NEXT) | instid1(SALU_CYCLE_3)
	s_mul_f32 s0, s0, 0x5f7ffffc
	s_mul_f32 s34, s0, 0x2f800000
	s_delay_alu instid0(SALU_CYCLE_3) | instskip(NEXT) | instid1(SALU_CYCLE_3)
	s_trunc_f32 s34, s34
	s_fmamk_f32 s0, s34, 0xcf800000, s0
	s_cvt_u32_f32 s63, s34
	s_delay_alu instid0(SALU_CYCLE_2) | instskip(NEXT) | instid1(SALU_CYCLE_3)
	s_cvt_u32_f32 s62, s0
	s_mul_u64 s[66:67], s[64:65], s[62:63]
	s_delay_alu instid0(SALU_CYCLE_1)
	s_mul_hi_u32 s69, s62, s67
	s_mul_i32 s68, s62, s67
	s_mul_hi_u32 s34, s62, s66
	s_mul_i32 s55, s63, s66
	s_add_nc_u64 s[68:69], s[34:35], s[68:69]
	s_mul_hi_u32 s0, s63, s66
	s_mul_hi_u32 s59, s63, s67
	s_add_co_u32 s34, s68, s55
	s_add_co_ci_u32 s34, s69, s0
	s_mul_i32 s66, s63, s67
	s_add_co_ci_u32 s67, s59, 0
	s_delay_alu instid0(SALU_CYCLE_1) | instskip(NEXT) | instid1(SALU_CYCLE_1)
	s_add_nc_u64 s[66:67], s[34:35], s[66:67]
	s_add_co_u32 s62, s62, s66
	s_cselect_b32 s0, -1, 0
	s_delay_alu instid0(SALU_CYCLE_1) | instskip(SKIP_1) | instid1(SALU_CYCLE_1)
	s_cmp_lg_u32 s0, 0
	s_add_co_ci_u32 s63, s63, s67
	s_mul_u64 s[64:65], s[64:65], s[62:63]
	s_delay_alu instid0(SALU_CYCLE_1)
	s_mul_hi_u32 s67, s62, s65
	s_mul_i32 s66, s62, s65
	s_mul_hi_u32 s34, s62, s64
	s_mul_i32 s55, s63, s64
	s_add_nc_u64 s[66:67], s[34:35], s[66:67]
	s_mul_hi_u32 s0, s63, s64
	s_mul_hi_u32 s59, s63, s65
	s_add_co_u32 s34, s66, s55
	s_add_co_ci_u32 s34, s67, s0
	s_mul_i32 s64, s63, s65
	s_add_co_ci_u32 s65, s59, 0
	s_delay_alu instid0(SALU_CYCLE_1) | instskip(NEXT) | instid1(SALU_CYCLE_1)
	s_add_nc_u64 s[64:65], s[34:35], s[64:65]
	s_add_co_u32 s0, s62, s64
	s_cselect_b32 s34, -1, 0
	v_nop
	v_mul_hi_u32 v22, v12, s0
	s_cmp_lg_u32 s34, 0
	s_add_co_ci_u32 s34, s63, s65
	s_and_b64 s[62:63], s[0:1], s[50:51]
	v_mul_u64_e32 v[14:15], s[34:35], v[12:13]
	v_mul_u64_e32 v[8:9], s[62:63], v[18:19]
	;; [unrolled: 1-line block ×3, first 2 shown]
	s_delay_alu instid0(VALU_DEP_3) | instskip(NEXT) | instid1(VALU_DEP_1)
	v_add_nc_u64_e32 v[14:15], v[22:23], v[14:15]
	v_add_co_u32 v3, vcc_lo, v14, v8
	s_delay_alu instid0(VALU_DEP_2) | instskip(NEXT) | instid1(VALU_DEP_4)
	v_add_co_ci_u32_e32 v22, vcc_lo, v15, v9, vcc_lo
	v_add_co_ci_u32_e32 v21, vcc_lo, 0, v21, vcc_lo
	s_delay_alu instid0(VALU_DEP_1) | instskip(NEXT) | instid1(VALU_DEP_1)
	v_add_nc_u64_e32 v[8:9], v[22:23], v[20:21]
	v_mul_u64_e32 v[14:15], s[56:57], v[8:9]
	s_delay_alu instid0(VALU_DEP_1) | instskip(NEXT) | instid1(VALU_DEP_2)
	v_sub_nc_u32_e32 v3, v18, v15
	v_sub_co_u32 v11, vcc_lo, v12, v14
	s_delay_alu instid0(VALU_DEP_1) | instskip(NEXT) | instid1(VALU_DEP_3)
	v_sub_co_ci_u32_e64 v17, null, v18, v15, vcc_lo
	v_subrev_co_ci_u32_e64 v3, null, s57, v3, vcc_lo
	s_delay_alu instid0(VALU_DEP_3) | instskip(SKIP_1) | instid1(VALU_DEP_3)
	v_sub_co_u32 v12, s0, v11, s56
	v_add_nc_u64_e32 v[14:15], 1, v[8:9]
	v_subrev_co_ci_u32_e64 v3, null, 0, v3, s0
	s_delay_alu instid0(VALU_DEP_3) | instskip(SKIP_1) | instid1(VALU_DEP_3)
	v_cmp_le_u32_e32 vcc_lo, s56, v12
	v_cndmask_b32_e64 v12, 0, -1, vcc_lo
	v_cmp_le_u32_e32 vcc_lo, s57, v3
	v_cndmask_b32_e64 v13, 0, -1, vcc_lo
	;; [unrolled: 2-line block ×4, first 2 shown]
	v_cmp_eq_u32_e32 vcc_lo, s57, v3
	v_cndmask_b32_e32 v3, v13, v12, vcc_lo
	v_cmp_eq_u32_e32 vcc_lo, s57, v17
	v_add_nc_u64_e32 v[12:13], 2, v[8:9]
	v_cndmask_b32_e32 v11, v18, v11, vcc_lo
	s_delay_alu instid0(VALU_DEP_4) | instskip(NEXT) | instid1(VALU_DEP_2)
	v_cmp_ne_u32_e32 vcc_lo, 0, v3
	v_cmp_ne_u32_e64 s0, 0, v11
	s_delay_alu instid0(VALU_DEP_4) | instskip(NEXT) | instid1(VALU_DEP_1)
	v_dual_cndmask_b32 v3, v15, v13, vcc_lo :: v_dual_cndmask_b32 v11, v14, v12, vcc_lo
	v_dual_cndmask_b32 v3, v9, v3, s0 :: v_dual_bitop2_b32 v12, s54, v10 bitop3:0x14
	s_delay_alu instid0(VALU_DEP_1) | instskip(NEXT) | instid1(VALU_DEP_2)
	v_mov_b32_e32 v13, v12
	v_dual_cndmask_b32 v8, v8, v11, s0 :: v_dual_bitop2_b32 v9, v3, v12 bitop3:0x14
	s_delay_alu instid0(VALU_DEP_1) | instskip(NEXT) | instid1(VALU_DEP_1)
	v_xor_b32_e32 v8, v8, v12
	v_sub_nc_u64_e32 v[8:9], v[8:9], v[12:13]
.LBB19_5:                               ;   in Loop: Header=BB19_3 Depth=1
	s_and_not1_saveexec_b32 s0, s58
	s_cbranch_execz .LBB19_7
; %bb.6:                                ;   in Loop: Header=BB19_3 Depth=1
	s_sub_co_i32 s34, 0, s28
	s_delay_alu instid0(SALU_CYCLE_1) | instskip(NEXT) | instid1(VALU_DEP_1)
	v_mul_lo_u32 v3, s34, v16
	v_mul_hi_u32 v3, v16, v3
	s_delay_alu instid0(VALU_DEP_1) | instskip(NEXT) | instid1(VALU_DEP_1)
	v_add_nc_u32_e32 v3, v16, v3
	v_mul_hi_u32 v3, v6, v3
	s_delay_alu instid0(VALU_DEP_1) | instskip(NEXT) | instid1(VALU_DEP_1)
	v_mul_lo_u32 v8, v3, s28
	v_dual_add_nc_u32 v9, 1, v3 :: v_dual_sub_nc_u32 v8, v6, v8
	s_delay_alu instid0(VALU_DEP_1) | instskip(SKIP_1) | instid1(VALU_DEP_2)
	v_subrev_nc_u32_e32 v11, s28, v8
	v_cmp_le_u32_e32 vcc_lo, s28, v8
	v_dual_cndmask_b32 v8, v8, v11 :: v_dual_cndmask_b32 v3, v3, v9
	s_delay_alu instid0(VALU_DEP_1) | instskip(NEXT) | instid1(VALU_DEP_2)
	v_cmp_le_u32_e32 vcc_lo, s28, v8
	v_add_nc_u32_e32 v9, 1, v3
	s_delay_alu instid0(VALU_DEP_1)
	v_dual_cndmask_b32 v8, v3, v9 :: v_dual_mov_b32 v9, v2
.LBB19_7:                               ;   in Loop: Header=BB19_3 Depth=1
	s_or_b32 exec_lo, exec_lo, s0
	s_delay_alu instid0(VALU_DEP_1) | instskip(SKIP_1) | instid1(VALU_DEP_1)
	v_or_b32_e32 v3, s31, v9
                                        ; implicit-def: $vgpr12_vgpr13
	s_mov_b32 s0, exec_lo
	v_cmpx_ne_u64_e32 0, v[2:3]
	s_xor_b32 s55, exec_lo, s0
	s_cbranch_execz .LBB19_9
; %bb.8:                                ;   in Loop: Header=BB19_3 Depth=1
	s_ashr_i32 s56, s31, 31
	v_dual_mov_b32 v19, v2 :: v_dual_ashrrev_i32 v12, 31, v9
	s_mov_b32 s57, s56
	v_mov_b32_e32 v27, v2
	s_add_nc_u64 s[58:59], s[30:31], s[56:57]
	s_delay_alu instid0(VALU_DEP_2) | instskip(SKIP_1) | instid1(SALU_CYCLE_1)
	v_mov_b32_e32 v13, v12
	s_xor_b64 s[56:57], s[58:59], s[56:57]
	s_cvt_f32_u32 s0, s56
	s_cvt_f32_u32 s34, s57
	s_sub_nc_u64 s[62:63], 0, s[56:57]
	v_add_nc_u64_e32 v[14:15], v[8:9], v[12:13]
	v_mov_b32_e32 v23, v2
	s_fmamk_f32 s0, s34, 0x4f800000, s0
	s_delay_alu instid0(SALU_CYCLE_3) | instskip(NEXT) | instid1(VALU_DEP_2)
	v_s_rcp_f32 s0, s0
	v_xor_b32_e32 v18, v14, v12
	s_delay_alu instid0(VALU_DEP_3) | instskip(NEXT) | instid1(TRANS32_DEP_1)
	v_xor_b32_e32 v22, v15, v12
	s_mul_f32 s0, s0, 0x5f7ffffc
	s_delay_alu instid0(SALU_CYCLE_3) | instskip(NEXT) | instid1(SALU_CYCLE_3)
	s_mul_f32 s34, s0, 0x2f800000
	s_trunc_f32 s34, s34
	s_delay_alu instid0(SALU_CYCLE_3) | instskip(SKIP_1) | instid1(SALU_CYCLE_2)
	s_fmamk_f32 s0, s34, 0xcf800000, s0
	s_cvt_u32_f32 s59, s34
	s_cvt_u32_f32 s58, s0
	s_delay_alu instid0(SALU_CYCLE_3) | instskip(NEXT) | instid1(SALU_CYCLE_1)
	s_mul_u64 s[64:65], s[62:63], s[58:59]
	s_mul_hi_u32 s67, s58, s65
	s_mul_i32 s66, s58, s65
	s_mul_hi_u32 s34, s58, s64
	s_mul_i32 s68, s59, s64
	s_add_nc_u64 s[66:67], s[34:35], s[66:67]
	s_mul_hi_u32 s0, s59, s64
	s_mul_hi_u32 s69, s59, s65
	s_add_co_u32 s34, s66, s68
	s_add_co_ci_u32 s34, s67, s0
	s_mul_i32 s64, s59, s65
	s_add_co_ci_u32 s65, s69, 0
	s_delay_alu instid0(SALU_CYCLE_1) | instskip(NEXT) | instid1(SALU_CYCLE_1)
	s_add_nc_u64 s[64:65], s[34:35], s[64:65]
	s_add_co_u32 s58, s58, s64
	s_cselect_b32 s0, -1, 0
	s_delay_alu instid0(SALU_CYCLE_1) | instskip(SKIP_1) | instid1(SALU_CYCLE_1)
	s_cmp_lg_u32 s0, 0
	s_add_co_ci_u32 s59, s59, s65
	s_mul_u64 s[62:63], s[62:63], s[58:59]
	s_delay_alu instid0(SALU_CYCLE_1)
	s_mul_hi_u32 s65, s58, s63
	s_mul_i32 s64, s58, s63
	s_mul_hi_u32 s34, s58, s62
	s_mul_i32 s66, s59, s62
	s_add_nc_u64 s[64:65], s[34:35], s[64:65]
	s_mul_hi_u32 s0, s59, s62
	s_mul_hi_u32 s67, s59, s63
	s_add_co_u32 s34, s64, s66
	s_add_co_ci_u32 s34, s65, s0
	s_mul_i32 s62, s59, s63
	s_add_co_ci_u32 s63, s67, 0
	s_delay_alu instid0(SALU_CYCLE_1) | instskip(NEXT) | instid1(SALU_CYCLE_1)
	s_add_nc_u64 s[62:63], s[34:35], s[62:63]
	s_add_co_u32 s0, s58, s62
	s_cselect_b32 s34, -1, 0
	v_mul_hi_u32 v26, v18, s0
	s_cmp_lg_u32 s34, 0
	s_add_co_ci_u32 s34, s59, s63
	s_and_b64 s[58:59], s[0:1], s[50:51]
	v_mul_u64_e32 v[20:21], s[34:35], v[18:19]
	v_mul_u64_e32 v[14:15], s[58:59], v[22:23]
	;; [unrolled: 1-line block ×3, first 2 shown]
	s_delay_alu instid0(VALU_DEP_3) | instskip(NEXT) | instid1(VALU_DEP_1)
	v_add_nc_u64_e32 v[20:21], v[26:27], v[20:21]
	v_add_co_u32 v3, vcc_lo, v20, v14
	s_delay_alu instid0(VALU_DEP_2) | instskip(NEXT) | instid1(VALU_DEP_4)
	v_add_co_ci_u32_e32 v26, vcc_lo, v21, v15, vcc_lo
	v_add_co_ci_u32_e32 v25, vcc_lo, 0, v25, vcc_lo
	s_delay_alu instid0(VALU_DEP_1) | instskip(NEXT) | instid1(VALU_DEP_1)
	v_add_nc_u64_e32 v[14:15], v[26:27], v[24:25]
	v_mul_u64_e32 v[14:15], s[56:57], v[14:15]
	s_delay_alu instid0(VALU_DEP_1) | instskip(NEXT) | instid1(VALU_DEP_1)
	v_sub_co_u32 v11, vcc_lo, v18, v14
	v_sub_co_ci_u32_e64 v14, null, v22, v15, vcc_lo
	s_delay_alu instid0(VALU_DEP_2) | instskip(NEXT) | instid1(VALU_DEP_1)
	v_cmp_le_u32_e64 s0, s56, v11
	v_cndmask_b32_e64 v18, 0, -1, s0
	v_sub_nc_u32_e32 v3, v22, v15
	s_delay_alu instid0(VALU_DEP_1) | instskip(SKIP_1) | instid1(VALU_DEP_1)
	v_subrev_co_ci_u32_e64 v3, null, s57, v3, vcc_lo
	v_sub_co_u32 v15, vcc_lo, v11, s56
	v_subrev_co_ci_u32_e64 v17, null, 0, v3, vcc_lo
	s_delay_alu instid0(VALU_DEP_2) | instskip(SKIP_2) | instid1(VALU_DEP_3)
	v_cmp_le_u32_e64 s0, s56, v15
	v_subrev_co_ci_u32_e64 v3, null, s57, v3, vcc_lo
	v_cmp_le_u32_e32 vcc_lo, s57, v14
	v_cndmask_b32_e64 v19, 0, -1, s0
	v_cmp_le_u32_e64 s0, s57, v17
	v_cndmask_b32_e64 v21, 0, -1, vcc_lo
	v_cmp_eq_u32_e32 vcc_lo, s57, v17
	s_delay_alu instid0(VALU_DEP_3) | instskip(SKIP_1) | instid1(VALU_DEP_2)
	v_cndmask_b32_e64 v20, 0, -1, s0
	v_cmp_eq_u32_e64 s0, s57, v14
	v_cndmask_b32_e32 v19, v20, v19, vcc_lo
	v_sub_co_u32 v20, vcc_lo, v15, s56
	s_delay_alu instid0(VALU_DEP_1) | instskip(NEXT) | instid1(VALU_DEP_3)
	v_subrev_co_ci_u32_e64 v3, null, 0, v3, vcc_lo
	v_cmp_ne_u32_e32 vcc_lo, 0, v19
	v_cndmask_b32_e64 v18, v21, v18, s0
	s_delay_alu instid0(VALU_DEP_3) | instskip(NEXT) | instid1(VALU_DEP_2)
	v_dual_cndmask_b32 v3, v17, v3, vcc_lo :: v_dual_cndmask_b32 v15, v15, v20, vcc_lo
	v_cmp_ne_u32_e32 vcc_lo, 0, v18
	s_delay_alu instid0(VALU_DEP_2) | instskip(NEXT) | instid1(VALU_DEP_1)
	v_cndmask_b32_e32 v11, v11, v15, vcc_lo
	v_dual_cndmask_b32 v3, v14, v3, vcc_lo :: v_dual_bitop2_b32 v14, v11, v12 bitop3:0x14
	s_delay_alu instid0(VALU_DEP_1) | instskip(NEXT) | instid1(VALU_DEP_1)
	v_xor_b32_e32 v15, v3, v12
	v_sub_nc_u64_e32 v[12:13], v[14:15], v[12:13]
.LBB19_9:                               ;   in Loop: Header=BB19_3 Depth=1
	s_and_not1_saveexec_b32 s0, s55
	s_cbranch_execz .LBB19_11
; %bb.10:                               ;   in Loop: Header=BB19_3 Depth=1
	v_cvt_f32_u32_e32 v3, s30
	s_sub_co_i32 s34, 0, s30
	v_mov_b32_e32 v13, v2
	s_delay_alu instid0(VALU_DEP_2) | instskip(SKIP_1) | instid1(TRANS32_DEP_1)
	v_rcp_iflag_f32_e32 v3, v3
	v_nop
	v_mul_f32_e32 v3, 0x4f7ffffe, v3
	s_delay_alu instid0(VALU_DEP_1) | instskip(NEXT) | instid1(VALU_DEP_1)
	v_cvt_u32_f32_e32 v3, v3
	v_mul_lo_u32 v11, s34, v3
	s_delay_alu instid0(VALU_DEP_1) | instskip(NEXT) | instid1(VALU_DEP_1)
	v_mul_hi_u32 v11, v3, v11
	v_add_nc_u32_e32 v3, v3, v11
	s_delay_alu instid0(VALU_DEP_1) | instskip(NEXT) | instid1(VALU_DEP_1)
	v_mul_hi_u32 v3, v8, v3
	v_mul_lo_u32 v3, v3, s30
	s_delay_alu instid0(VALU_DEP_1) | instskip(NEXT) | instid1(VALU_DEP_1)
	v_sub_nc_u32_e32 v3, v8, v3
	v_subrev_nc_u32_e32 v11, s30, v3
	v_cmp_le_u32_e32 vcc_lo, s30, v3
	s_delay_alu instid0(VALU_DEP_2) | instskip(NEXT) | instid1(VALU_DEP_1)
	v_cndmask_b32_e32 v3, v3, v11, vcc_lo
	v_subrev_nc_u32_e32 v11, s30, v3
	v_cmp_le_u32_e32 vcc_lo, s30, v3
	s_delay_alu instid0(VALU_DEP_2)
	v_cndmask_b32_e32 v12, v3, v11, vcc_lo
.LBB19_11:                              ;   in Loop: Header=BB19_3 Depth=1
	s_or_b32 exec_lo, exec_lo, s0
	v_or_b32_e32 v3, s53, v7
                                        ; implicit-def: $vgpr14_vgpr15
	s_mov_b32 s0, exec_lo
	s_delay_alu instid0(VALU_DEP_1)
	v_cmpx_ne_u64_e32 0, v[2:3]
	s_xor_b32 s55, exec_lo, s0
	s_cbranch_execz .LBB19_13
; %bb.12:                               ;   in Loop: Header=BB19_3 Depth=1
	s_ashr_i32 s56, s53, 31
	v_dual_mov_b32 v11, v10 :: v_dual_mov_b32 v19, v2
	s_mov_b32 s57, s56
	v_mov_b32_e32 v27, v2
	s_add_nc_u64 s[58:59], s[52:53], s[56:57]
	s_delay_alu instid0(VALU_DEP_2)
	v_add_nc_u64_e32 v[14:15], v[6:7], v[10:11]
	s_xor_b64 s[58:59], s[58:59], s[56:57]
	v_mov_b32_e32 v23, v2
	s_cvt_f32_u32 s0, s58
	s_cvt_f32_u32 s34, s59
	s_sub_nc_u64 s[64:65], 0, s[58:59]
	s_delay_alu instid0(VALU_DEP_2) | instskip(NEXT) | instid1(SALU_CYCLE_1)
	v_xor_b32_e32 v18, v14, v10
	s_fmamk_f32 s0, s34, 0x4f800000, s0
	v_xor_b32_e32 v22, v15, v10
	v_xor_b32_e32 v10, s56, v10
	s_delay_alu instid0(SALU_CYCLE_1) | instskip(NEXT) | instid1(TRANS32_DEP_1)
	v_s_rcp_f32 s0, s0
	s_mul_f32 s0, s0, 0x5f7ffffc
	s_delay_alu instid0(SALU_CYCLE_3) | instskip(NEXT) | instid1(SALU_CYCLE_3)
	s_mul_f32 s34, s0, 0x2f800000
	s_trunc_f32 s34, s34
	s_delay_alu instid0(SALU_CYCLE_3) | instskip(SKIP_1) | instid1(SALU_CYCLE_2)
	s_fmamk_f32 s0, s34, 0xcf800000, s0
	s_cvt_u32_f32 s63, s34
	s_cvt_u32_f32 s62, s0
	s_delay_alu instid0(SALU_CYCLE_3) | instskip(NEXT) | instid1(SALU_CYCLE_1)
	s_mul_u64 s[66:67], s[64:65], s[62:63]
	s_mul_hi_u32 s69, s62, s67
	s_mul_i32 s68, s62, s67
	s_mul_hi_u32 s34, s62, s66
	s_mul_i32 s57, s63, s66
	s_add_nc_u64 s[68:69], s[34:35], s[68:69]
	s_mul_hi_u32 s0, s63, s66
	s_mul_hi_u32 s70, s63, s67
	s_add_co_u32 s34, s68, s57
	s_add_co_ci_u32 s34, s69, s0
	s_mul_i32 s66, s63, s67
	s_add_co_ci_u32 s67, s70, 0
	s_delay_alu instid0(SALU_CYCLE_1) | instskip(NEXT) | instid1(SALU_CYCLE_1)
	s_add_nc_u64 s[66:67], s[34:35], s[66:67]
	s_add_co_u32 s62, s62, s66
	s_cselect_b32 s0, -1, 0
	s_delay_alu instid0(SALU_CYCLE_1) | instskip(SKIP_1) | instid1(SALU_CYCLE_1)
	s_cmp_lg_u32 s0, 0
	s_add_co_ci_u32 s63, s63, s67
	s_mul_u64 s[64:65], s[64:65], s[62:63]
	s_delay_alu instid0(SALU_CYCLE_1)
	s_mul_hi_u32 s67, s62, s65
	s_mul_i32 s66, s62, s65
	s_mul_hi_u32 s34, s62, s64
	s_mul_i32 s57, s63, s64
	s_add_nc_u64 s[66:67], s[34:35], s[66:67]
	s_mul_hi_u32 s0, s63, s64
	s_mul_hi_u32 s68, s63, s65
	s_add_co_u32 s34, s66, s57
	s_add_co_ci_u32 s34, s67, s0
	s_mul_i32 s64, s63, s65
	s_add_co_ci_u32 s65, s68, 0
	s_delay_alu instid0(SALU_CYCLE_1) | instskip(NEXT) | instid1(SALU_CYCLE_1)
	s_add_nc_u64 s[64:65], s[34:35], s[64:65]
	s_add_co_u32 s0, s62, s64
	s_cselect_b32 s34, -1, 0
	v_nop
	v_mul_hi_u32 v26, v18, s0
	s_cmp_lg_u32 s34, 0
	s_add_co_ci_u32 s34, s63, s65
	s_and_b64 s[62:63], s[0:1], s[50:51]
	v_mul_u64_e32 v[20:21], s[34:35], v[18:19]
	v_mul_u64_e32 v[14:15], s[62:63], v[22:23]
	;; [unrolled: 1-line block ×3, first 2 shown]
	s_delay_alu instid0(VALU_DEP_3) | instskip(NEXT) | instid1(VALU_DEP_1)
	v_add_nc_u64_e32 v[20:21], v[26:27], v[20:21]
	v_add_co_u32 v3, vcc_lo, v20, v14
	s_delay_alu instid0(VALU_DEP_2) | instskip(NEXT) | instid1(VALU_DEP_4)
	v_add_co_ci_u32_e32 v26, vcc_lo, v21, v15, vcc_lo
	v_add_co_ci_u32_e32 v25, vcc_lo, 0, v25, vcc_lo
	s_delay_alu instid0(VALU_DEP_1) | instskip(NEXT) | instid1(VALU_DEP_1)
	v_add_nc_u64_e32 v[14:15], v[26:27], v[24:25]
	v_mul_u64_e32 v[20:21], s[58:59], v[14:15]
	s_delay_alu instid0(VALU_DEP_1) | instskip(NEXT) | instid1(VALU_DEP_2)
	v_sub_nc_u32_e32 v3, v22, v21
	v_sub_co_u32 v11, vcc_lo, v18, v20
	s_delay_alu instid0(VALU_DEP_1) | instskip(NEXT) | instid1(VALU_DEP_3)
	v_sub_co_ci_u32_e64 v22, null, v22, v21, vcc_lo
	v_subrev_co_ci_u32_e64 v3, null, s59, v3, vcc_lo
	s_delay_alu instid0(VALU_DEP_3) | instskip(SKIP_1) | instid1(VALU_DEP_3)
	v_sub_co_u32 v17, s0, v11, s58
	v_add_nc_u64_e32 v[20:21], 1, v[14:15]
	v_subrev_co_ci_u32_e64 v3, null, 0, v3, s0
	s_delay_alu instid0(VALU_DEP_3) | instskip(SKIP_1) | instid1(VALU_DEP_3)
	v_cmp_le_u32_e32 vcc_lo, s58, v17
	v_cndmask_b32_e64 v17, 0, -1, vcc_lo
	v_cmp_le_u32_e32 vcc_lo, s59, v3
	v_cndmask_b32_e64 v18, 0, -1, vcc_lo
	;; [unrolled: 2-line block ×4, first 2 shown]
	v_cmp_eq_u32_e32 vcc_lo, s59, v3
	v_cndmask_b32_e32 v3, v18, v17, vcc_lo
	v_cmp_eq_u32_e32 vcc_lo, s59, v22
	v_add_nc_u64_e32 v[18:19], 2, v[14:15]
	v_cndmask_b32_e32 v11, v23, v11, vcc_lo
	s_delay_alu instid0(VALU_DEP_4) | instskip(NEXT) | instid1(VALU_DEP_2)
	v_cmp_ne_u32_e32 vcc_lo, 0, v3
	v_cmp_ne_u32_e64 s0, 0, v11
	s_delay_alu instid0(VALU_DEP_4) | instskip(NEXT) | instid1(VALU_DEP_1)
	v_dual_cndmask_b32 v3, v21, v19, vcc_lo :: v_dual_cndmask_b32 v11, v20, v18, vcc_lo
	v_cndmask_b32_e64 v3, v15, v3, s0
	s_delay_alu instid0(VALU_DEP_2) | instskip(NEXT) | instid1(VALU_DEP_2)
	v_cndmask_b32_e64 v14, v14, v11, s0
	v_dual_mov_b32 v11, v10 :: v_dual_bitop2_b32 v15, v3, v10 bitop3:0x14
	s_delay_alu instid0(VALU_DEP_2) | instskip(NEXT) | instid1(VALU_DEP_1)
	v_xor_b32_e32 v14, v14, v10
	v_sub_nc_u64_e32 v[14:15], v[14:15], v[10:11]
.LBB19_13:                              ;   in Loop: Header=BB19_3 Depth=1
	s_and_not1_saveexec_b32 s0, s55
	s_cbranch_execz .LBB19_15
; %bb.14:                               ;   in Loop: Header=BB19_3 Depth=1
	v_cvt_f32_u32_e32 v3, s52
	s_sub_co_i32 s34, 0, s52
	v_mov_b32_e32 v15, v2
	s_delay_alu instid0(VALU_DEP_2) | instskip(SKIP_1) | instid1(TRANS32_DEP_1)
	v_rcp_iflag_f32_e32 v3, v3
	v_nop
	v_mul_f32_e32 v3, 0x4f7ffffe, v3
	s_delay_alu instid0(VALU_DEP_1) | instskip(NEXT) | instid1(VALU_DEP_1)
	v_cvt_u32_f32_e32 v3, v3
	v_mul_lo_u32 v10, s34, v3
	s_delay_alu instid0(VALU_DEP_1) | instskip(NEXT) | instid1(VALU_DEP_1)
	v_mul_hi_u32 v10, v3, v10
	v_add_nc_u32_e32 v3, v3, v10
	s_delay_alu instid0(VALU_DEP_1) | instskip(NEXT) | instid1(VALU_DEP_1)
	v_mul_hi_u32 v3, v5, v3
	v_mul_lo_u32 v10, v3, s52
	s_delay_alu instid0(VALU_DEP_1) | instskip(NEXT) | instid1(VALU_DEP_1)
	v_sub_nc_u32_e32 v10, v5, v10
	v_subrev_nc_u32_e32 v14, s52, v10
	v_cmp_le_u32_e32 vcc_lo, s52, v10
	s_delay_alu instid0(VALU_DEP_2) | instskip(NEXT) | instid1(VALU_DEP_1)
	v_dual_cndmask_b32 v10, v10, v14 :: v_dual_add_nc_u32 v11, 1, v3
	v_cndmask_b32_e32 v3, v3, v11, vcc_lo
	s_delay_alu instid0(VALU_DEP_2) | instskip(NEXT) | instid1(VALU_DEP_2)
	v_cmp_le_u32_e32 vcc_lo, s52, v10
	v_add_nc_u32_e32 v11, 1, v3
	s_delay_alu instid0(VALU_DEP_1)
	v_cndmask_b32_e32 v14, v3, v11, vcc_lo
.LBB19_15:                              ;   in Loop: Header=BB19_3 Depth=1
	s_or_b32 exec_lo, exec_lo, s0
	s_delay_alu instid0(VALU_DEP_1) | instskip(SKIP_1) | instid1(VALU_DEP_1)
	v_or_b32_e32 v3, s43, v15
                                        ; implicit-def: $vgpr10_vgpr11
	s_mov_b32 s0, exec_lo
	v_cmpx_ne_u64_e32 0, v[2:3]
	s_xor_b32 s55, exec_lo, s0
	s_cbranch_execz .LBB19_17
; %bb.16:                               ;   in Loop: Header=BB19_3 Depth=1
	s_ashr_i32 s56, s43, 31
	v_dual_mov_b32 v19, v2 :: v_dual_ashrrev_i32 v10, 31, v15
	s_mov_b32 s57, s56
	v_mov_b32_e32 v23, v2
	s_add_nc_u64 s[58:59], s[42:43], s[56:57]
	s_delay_alu instid0(VALU_DEP_2)
	v_mov_b32_e32 v11, v10
	s_xor_b64 s[56:57], s[58:59], s[56:57]
	v_mov_b32_e32 v27, v2
	s_cvt_f32_u32 s0, s56
	s_cvt_f32_u32 s34, s57
	s_sub_nc_u64 s[62:63], 0, s[56:57]
	v_add_nc_u64_e32 v[14:15], v[14:15], v[10:11]
	s_delay_alu instid0(SALU_CYCLE_1) | instskip(NEXT) | instid1(SALU_CYCLE_3)
	s_fmamk_f32 s0, s34, 0x4f800000, s0
	v_s_rcp_f32 s0, s0
	s_delay_alu instid0(VALU_DEP_1) | instskip(NEXT) | instid1(VALU_DEP_2)
	v_xor_b32_e32 v18, v14, v10
	v_xor_b32_e32 v22, v15, v10
	s_delay_alu instid0(TRANS32_DEP_1) | instskip(NEXT) | instid1(SALU_CYCLE_3)
	s_mul_f32 s0, s0, 0x5f7ffffc
	s_mul_f32 s34, s0, 0x2f800000
	s_delay_alu instid0(SALU_CYCLE_3) | instskip(NEXT) | instid1(SALU_CYCLE_3)
	s_trunc_f32 s34, s34
	s_fmamk_f32 s0, s34, 0xcf800000, s0
	s_cvt_u32_f32 s59, s34
	s_delay_alu instid0(SALU_CYCLE_2) | instskip(NEXT) | instid1(SALU_CYCLE_3)
	s_cvt_u32_f32 s58, s0
	s_mul_u64 s[64:65], s[62:63], s[58:59]
	s_delay_alu instid0(SALU_CYCLE_1)
	s_mul_hi_u32 s67, s58, s65
	s_mul_i32 s66, s58, s65
	s_mul_hi_u32 s34, s58, s64
	s_mul_i32 s68, s59, s64
	s_add_nc_u64 s[66:67], s[34:35], s[66:67]
	s_mul_hi_u32 s0, s59, s64
	s_mul_hi_u32 s69, s59, s65
	s_add_co_u32 s34, s66, s68
	s_add_co_ci_u32 s34, s67, s0
	s_mul_i32 s64, s59, s65
	s_add_co_ci_u32 s65, s69, 0
	s_delay_alu instid0(SALU_CYCLE_1) | instskip(NEXT) | instid1(SALU_CYCLE_1)
	s_add_nc_u64 s[64:65], s[34:35], s[64:65]
	s_add_co_u32 s58, s58, s64
	s_cselect_b32 s0, -1, 0
	s_delay_alu instid0(SALU_CYCLE_1) | instskip(SKIP_1) | instid1(SALU_CYCLE_1)
	s_cmp_lg_u32 s0, 0
	s_add_co_ci_u32 s59, s59, s65
	s_mul_u64 s[62:63], s[62:63], s[58:59]
	s_delay_alu instid0(SALU_CYCLE_1)
	s_mul_hi_u32 s65, s58, s63
	s_mul_i32 s64, s58, s63
	s_mul_hi_u32 s34, s58, s62
	s_mul_i32 s66, s59, s62
	s_add_nc_u64 s[64:65], s[34:35], s[64:65]
	s_mul_hi_u32 s0, s59, s62
	s_mul_hi_u32 s67, s59, s63
	s_add_co_u32 s34, s64, s66
	s_add_co_ci_u32 s34, s65, s0
	s_mul_i32 s62, s59, s63
	s_add_co_ci_u32 s63, s67, 0
	s_delay_alu instid0(SALU_CYCLE_1) | instskip(NEXT) | instid1(SALU_CYCLE_1)
	s_add_nc_u64 s[62:63], s[34:35], s[62:63]
	s_add_co_u32 s0, s58, s62
	s_cselect_b32 s34, -1, 0
	v_mul_hi_u32 v26, v18, s0
	s_cmp_lg_u32 s34, 0
	s_add_co_ci_u32 s34, s59, s63
	s_and_b64 s[58:59], s[0:1], s[50:51]
	v_mul_u64_e32 v[20:21], s[34:35], v[18:19]
	v_mul_u64_e32 v[14:15], s[58:59], v[22:23]
	;; [unrolled: 1-line block ×3, first 2 shown]
	s_delay_alu instid0(VALU_DEP_3) | instskip(NEXT) | instid1(VALU_DEP_1)
	v_add_nc_u64_e32 v[20:21], v[26:27], v[20:21]
	v_add_co_u32 v3, vcc_lo, v20, v14
	s_delay_alu instid0(VALU_DEP_2) | instskip(NEXT) | instid1(VALU_DEP_4)
	v_add_co_ci_u32_e32 v26, vcc_lo, v21, v15, vcc_lo
	v_add_co_ci_u32_e32 v25, vcc_lo, 0, v25, vcc_lo
	s_delay_alu instid0(VALU_DEP_1) | instskip(NEXT) | instid1(VALU_DEP_1)
	v_add_nc_u64_e32 v[14:15], v[26:27], v[24:25]
	v_mul_u64_e32 v[14:15], s[56:57], v[14:15]
	s_delay_alu instid0(VALU_DEP_1) | instskip(NEXT) | instid1(VALU_DEP_2)
	v_sub_nc_u32_e32 v3, v22, v15
	v_sub_co_u32 v14, vcc_lo, v18, v14
	s_delay_alu instid0(VALU_DEP_1) | instskip(NEXT) | instid1(VALU_DEP_3)
	v_sub_co_ci_u32_e64 v15, null, v22, v15, vcc_lo
	v_subrev_co_ci_u32_e64 v3, null, s57, v3, vcc_lo
	s_delay_alu instid0(VALU_DEP_3) | instskip(SKIP_1) | instid1(VALU_DEP_3)
	v_sub_co_u32 v17, vcc_lo, v14, s56
	v_cmp_le_u32_e64 s0, s56, v14
	v_subrev_co_ci_u32_e64 v18, null, 0, v3, vcc_lo
	v_subrev_co_ci_u32_e64 v3, null, s57, v3, vcc_lo
	s_delay_alu instid0(VALU_DEP_3) | instskip(SKIP_2) | instid1(VALU_DEP_2)
	v_cndmask_b32_e64 v19, 0, -1, s0
	v_cmp_le_u32_e64 s0, s56, v17
	v_cmp_le_u32_e32 vcc_lo, s57, v15
	v_cndmask_b32_e64 v20, 0, -1, s0
	v_cmp_le_u32_e64 s0, s57, v18
	v_cndmask_b32_e64 v22, 0, -1, vcc_lo
	v_cmp_eq_u32_e32 vcc_lo, s57, v18
	s_delay_alu instid0(VALU_DEP_3) | instskip(SKIP_1) | instid1(VALU_DEP_2)
	v_cndmask_b32_e64 v21, 0, -1, s0
	v_cmp_eq_u32_e64 s0, s57, v15
	v_cndmask_b32_e32 v20, v21, v20, vcc_lo
	v_sub_co_u32 v21, vcc_lo, v17, s56
	s_delay_alu instid0(VALU_DEP_1) | instskip(NEXT) | instid1(VALU_DEP_3)
	v_subrev_co_ci_u32_e64 v3, null, 0, v3, vcc_lo
	v_cmp_ne_u32_e32 vcc_lo, 0, v20
	v_cndmask_b32_e64 v19, v22, v19, s0
	s_delay_alu instid0(VALU_DEP_3) | instskip(NEXT) | instid1(VALU_DEP_2)
	v_dual_cndmask_b32 v3, v18, v3, vcc_lo :: v_dual_cndmask_b32 v17, v17, v21, vcc_lo
	v_cmp_ne_u32_e32 vcc_lo, 0, v19
	s_delay_alu instid0(VALU_DEP_2) | instskip(NEXT) | instid1(VALU_DEP_1)
	v_dual_cndmask_b32 v3, v15, v3 :: v_dual_cndmask_b32 v14, v14, v17
	v_xor_b32_e32 v15, v3, v10
	s_delay_alu instid0(VALU_DEP_2) | instskip(NEXT) | instid1(VALU_DEP_1)
	v_xor_b32_e32 v14, v14, v10
	v_sub_nc_u64_e32 v[10:11], v[14:15], v[10:11]
                                        ; implicit-def: $vgpr14_vgpr15
.LBB19_17:                              ;   in Loop: Header=BB19_3 Depth=1
	s_and_not1_saveexec_b32 s0, s55
	s_cbranch_execz .LBB19_19
; %bb.18:                               ;   in Loop: Header=BB19_3 Depth=1
	v_cvt_f32_u32_e32 v3, s42
	s_sub_co_i32 s34, 0, s42
	v_mov_b32_e32 v11, v2
	s_delay_alu instid0(VALU_DEP_2) | instskip(SKIP_1) | instid1(TRANS32_DEP_1)
	v_rcp_iflag_f32_e32 v3, v3
	v_nop
	v_mul_f32_e32 v3, 0x4f7ffffe, v3
	s_delay_alu instid0(VALU_DEP_1) | instskip(NEXT) | instid1(VALU_DEP_1)
	v_cvt_u32_f32_e32 v3, v3
	v_mul_lo_u32 v10, s34, v3
	s_delay_alu instid0(VALU_DEP_1) | instskip(NEXT) | instid1(VALU_DEP_1)
	v_mul_hi_u32 v10, v3, v10
	v_add_nc_u32_e32 v3, v3, v10
	s_delay_alu instid0(VALU_DEP_1) | instskip(NEXT) | instid1(VALU_DEP_1)
	v_mul_hi_u32 v3, v14, v3
	v_mul_lo_u32 v3, v3, s42
	s_delay_alu instid0(VALU_DEP_1) | instskip(NEXT) | instid1(VALU_DEP_1)
	v_sub_nc_u32_e32 v3, v14, v3
	v_subrev_nc_u32_e32 v10, s42, v3
	v_cmp_le_u32_e32 vcc_lo, s42, v3
	s_delay_alu instid0(VALU_DEP_2) | instskip(NEXT) | instid1(VALU_DEP_1)
	v_cndmask_b32_e32 v3, v3, v10, vcc_lo
	v_subrev_nc_u32_e32 v10, s42, v3
	v_cmp_le_u32_e32 vcc_lo, s42, v3
	s_delay_alu instid0(VALU_DEP_2)
	v_cndmask_b32_e32 v10, v3, v10, vcc_lo
.LBB19_19:                              ;   in Loop: Header=BB19_3 Depth=1
	s_or_b32 exec_lo, exec_lo, s0
	v_mul_u64_e32 v[8:9], s[28:29], v[8:9]
	v_mul_u64_e32 v[14:15], s[6:7], v[12:13]
	s_delay_alu instid0(VALU_DEP_3) | instskip(SKIP_3) | instid1(VALU_DEP_3)
	v_mul_u64_e32 v[18:19], s[8:9], v[10:11]
	s_mov_b32 s34, -1
	s_mov_b32 s56, -1
	s_mov_b32 s55, exec_lo
	v_sub_nc_u64_e32 v[6:7], v[6:7], v[8:9]
	s_delay_alu instid0(VALU_DEP_1) | instskip(NEXT) | instid1(VALU_DEP_1)
	v_mul_u64_e32 v[8:9], s[4:5], v[6:7]
	v_lshl_add_u64 v[8:9], v[8:9], 3, s[40:41]
	s_delay_alu instid0(VALU_DEP_1) | instskip(NEXT) | instid1(VALU_DEP_1)
	v_lshl_add_u64 v[8:9], v[14:15], 3, v[8:9]
	v_lshl_add_u64 v[8:9], v[18:19], 3, v[8:9]
	global_load_b64 v[8:9], v[8:9], off
	s_wait_loadcnt 0x0
	s_wait_xcnt 0x0
	v_cmpx_ne_u64_e64 s[38:39], v[8:9]
	s_cbranch_execz .LBB19_26
; %bb.20:                               ;   in Loop: Header=BB19_3 Depth=1
	v_cmp_lt_i64_e32 vcc_lo, -1, v[8:9]
	v_cmp_gt_i64_e64 s0, s[44:45], v[8:9]
	s_mov_b32 s56, 0
	s_and_b32 s57, vcc_lo, s0
	s_delay_alu instid0(SALU_CYCLE_1)
	s_and_saveexec_b32 s0, s57
	s_cbranch_execz .LBB19_25
; %bb.21:                               ;   in Loop: Header=BB19_3 Depth=1
	s_and_not1_b32 vcc_lo, exec_lo, s1
	s_cbranch_vccnz .LBB19_23
; %bb.22:                               ;   in Loop: Header=BB19_3 Depth=1
	v_lshl_add_u64 v[14:15], v[8:9], 1, s[36:37]
	global_load_u16 v3, v[14:15], off
	s_wait_loadcnt 0x0
	v_lshlrev_b32_e32 v3, 16, v3
	s_branch .LBB19_24
.LBB19_23:                              ;   in Loop: Header=BB19_3 Depth=1
	v_mov_b32_e32 v3, 1.0
.LBB19_24:                              ;   in Loop: Header=BB19_3 Depth=1
	s_wait_xcnt 0x0
	v_mul_u64_e32 v[14:15], s[12:13], v[6:7]
	v_mul_u64_e32 v[18:19], s[14:15], v[12:13]
	v_mul_u64_e32 v[20:21], s[16:17], v[10:11]
	v_mul_u64_e32 v[6:7], s[20:21], v[6:7]
	v_mul_u64_e32 v[8:9], s[22:23], v[8:9]
	v_mul_u64_e32 v[12:13], s[24:25], v[12:13]
	v_mul_u64_e32 v[10:11], s[26:27], v[10:11]
	v_cmp_o_f32_e32 vcc_lo, v3, v3
	s_mov_b32 s56, exec_lo
	v_lshl_add_u64 v[14:15], v[14:15], 1, s[10:11]
	v_lshl_add_u64 v[6:7], v[6:7], 1, s[18:19]
	s_delay_alu instid0(VALU_DEP_2) | instskip(NEXT) | instid1(VALU_DEP_2)
	v_lshl_add_u64 v[14:15], v[18:19], 1, v[14:15]
	v_lshl_add_u64 v[6:7], v[8:9], 1, v[6:7]
	s_delay_alu instid0(VALU_DEP_2) | instskip(NEXT) | instid1(VALU_DEP_2)
	v_lshl_add_u64 v[14:15], v[20:21], 1, v[14:15]
	v_lshl_add_u64 v[6:7], v[12:13], 1, v[6:7]
	global_load_u16 v14, v[14:15], off
	s_wait_xcnt 0x0
	v_xor_b32_e32 v15, 0x80000000, v3
	v_lshl_add_u64 v[6:7], v[10:11], 1, v[6:7]
	s_delay_alu instid0(VALU_DEP_2) | instskip(NEXT) | instid1(VALU_DEP_1)
	v_bfe_u32 v17, v15, 16, 1
	v_add3_u32 v15, v15, v17, 0x7fff
	s_delay_alu instid0(VALU_DEP_1) | instskip(SKIP_1) | instid1(VALU_DEP_1)
	v_and_b32_e32 v15, 0xffff0000, v15
	s_wait_loadcnt 0x0
	v_dual_cndmask_b32 v3, 0x7fc00000, v15 :: v_dual_lshlrev_b32 v14, 16, v14
	s_delay_alu instid0(VALU_DEP_1) | instskip(NEXT) | instid1(VALU_DEP_1)
	v_mul_f32_e32 v3, v3, v14
	v_bfe_u32 v14, v3, 16, 1
	s_delay_alu instid0(VALU_DEP_1) | instskip(NEXT) | instid1(VALU_DEP_1)
	v_add3_u32 v14, v3, v14, 0x7fff
	v_lshrrev_b32_e32 v8, 16, v14
	v_cmp_o_f32_e32 vcc_lo, v3, v3
	s_delay_alu instid0(VALU_DEP_2)
	v_cndmask_b32_e32 v3, 0x7fc0, v8, vcc_lo
	global_store_b16 v[6:7], v3, off
.LBB19_25:                              ;   in Loop: Header=BB19_3 Depth=1
	s_wait_xcnt 0x0
	s_or_b32 exec_lo, exec_lo, s0
	s_delay_alu instid0(SALU_CYCLE_1)
	s_or_not1_b32 s56, s56, exec_lo
.LBB19_26:                              ;   in Loop: Header=BB19_3 Depth=1
	s_or_b32 exec_lo, exec_lo, s55
	s_delay_alu instid0(SALU_CYCLE_1)
	s_or_b32 s61, s61, exec_lo
	s_and_saveexec_b32 s0, s56
	s_cbranch_execz .LBB19_2
; %bb.27:                               ;   in Loop: Header=BB19_3 Depth=1
	v_add_nc_u64_e32 v[0:1], s[46:47], v[0:1]
	v_add_nc_u64_e32 v[4:5], s[48:49], v[4:5]
	s_and_not1_b32 s61, s61, exec_lo
	s_delay_alu instid0(VALU_DEP_2)
	v_cmp_le_i64_e32 vcc_lo, s[2:3], v[0:1]
	s_or_not1_b32 s34, vcc_lo, exec_lo
	s_branch .LBB19_2
.LBB19_28:
	s_or_b32 exec_lo, exec_lo, s33
	s_and_saveexec_b32 s0, s60
	s_delay_alu instid0(SALU_CYCLE_1)
	s_xor_b32 s0, exec_lo, s0
	s_cbranch_execnz .LBB19_30
.LBB19_29:
	s_endpgm
.LBB19_30:
	s_trap 2
	; divergent unreachable
	s_endpgm
	.section	.rodata,"a",@progbits
	.p2align	6, 0x0
	.amdhsa_kernel _ZN2at6native12_GLOBAL__N_136nll_loss2d_backward_no_reduce_kernelIN3c108BFloat16EEEvlN5torch10headeronly6detail27GenericPackedTensorAccessorINS7_14TensorAccessorINS3_8ArrayRefIlEElLm2ENS6_16DefaultPtrTraitsElEENS_6detail16IndexBoundsCheckILm3ElEElLm3ESC_lEENS8_INS9_ISB_T_Lm2ESC_lEESG_SI_Lm3ESC_lEENS8_INS9_ISB_SI_Lm3ESC_lEENSF_ILm4ElEESI_Lm4ESC_lEEPKSI_l
		.amdhsa_group_segment_fixed_size 0
		.amdhsa_private_segment_fixed_size 0
		.amdhsa_kernarg_size 464
		.amdhsa_user_sgpr_count 2
		.amdhsa_user_sgpr_dispatch_ptr 0
		.amdhsa_user_sgpr_queue_ptr 0
		.amdhsa_user_sgpr_kernarg_segment_ptr 1
		.amdhsa_user_sgpr_dispatch_id 0
		.amdhsa_user_sgpr_kernarg_preload_length 0
		.amdhsa_user_sgpr_kernarg_preload_offset 0
		.amdhsa_user_sgpr_private_segment_size 0
		.amdhsa_wavefront_size32 1
		.amdhsa_uses_dynamic_stack 0
		.amdhsa_enable_private_segment 0
		.amdhsa_system_sgpr_workgroup_id_x 1
		.amdhsa_system_sgpr_workgroup_id_y 0
		.amdhsa_system_sgpr_workgroup_id_z 0
		.amdhsa_system_sgpr_workgroup_info 0
		.amdhsa_system_vgpr_workitem_id 0
		.amdhsa_next_free_vgpr 28
		.amdhsa_next_free_sgpr 71
		.amdhsa_named_barrier_count 0
		.amdhsa_reserve_vcc 1
		.amdhsa_float_round_mode_32 0
		.amdhsa_float_round_mode_16_64 0
		.amdhsa_float_denorm_mode_32 3
		.amdhsa_float_denorm_mode_16_64 3
		.amdhsa_fp16_overflow 0
		.amdhsa_memory_ordered 1
		.amdhsa_forward_progress 1
		.amdhsa_inst_pref_size 30
		.amdhsa_round_robin_scheduling 0
		.amdhsa_exception_fp_ieee_invalid_op 0
		.amdhsa_exception_fp_denorm_src 0
		.amdhsa_exception_fp_ieee_div_zero 0
		.amdhsa_exception_fp_ieee_overflow 0
		.amdhsa_exception_fp_ieee_underflow 0
		.amdhsa_exception_fp_ieee_inexact 0
		.amdhsa_exception_int_div_zero 0
	.end_amdhsa_kernel
	.section	.text._ZN2at6native12_GLOBAL__N_136nll_loss2d_backward_no_reduce_kernelIN3c108BFloat16EEEvlN5torch10headeronly6detail27GenericPackedTensorAccessorINS7_14TensorAccessorINS3_8ArrayRefIlEElLm2ENS6_16DefaultPtrTraitsElEENS_6detail16IndexBoundsCheckILm3ElEElLm3ESC_lEENS8_INS9_ISB_T_Lm2ESC_lEESG_SI_Lm3ESC_lEENS8_INS9_ISB_SI_Lm3ESC_lEENSF_ILm4ElEESI_Lm4ESC_lEEPKSI_l,"axG",@progbits,_ZN2at6native12_GLOBAL__N_136nll_loss2d_backward_no_reduce_kernelIN3c108BFloat16EEEvlN5torch10headeronly6detail27GenericPackedTensorAccessorINS7_14TensorAccessorINS3_8ArrayRefIlEElLm2ENS6_16DefaultPtrTraitsElEENS_6detail16IndexBoundsCheckILm3ElEElLm3ESC_lEENS8_INS9_ISB_T_Lm2ESC_lEESG_SI_Lm3ESC_lEENS8_INS9_ISB_SI_Lm3ESC_lEENSF_ILm4ElEESI_Lm4ESC_lEEPKSI_l,comdat
.Lfunc_end19:
	.size	_ZN2at6native12_GLOBAL__N_136nll_loss2d_backward_no_reduce_kernelIN3c108BFloat16EEEvlN5torch10headeronly6detail27GenericPackedTensorAccessorINS7_14TensorAccessorINS3_8ArrayRefIlEElLm2ENS6_16DefaultPtrTraitsElEENS_6detail16IndexBoundsCheckILm3ElEElLm3ESC_lEENS8_INS9_ISB_T_Lm2ESC_lEESG_SI_Lm3ESC_lEENS8_INS9_ISB_SI_Lm3ESC_lEENSF_ILm4ElEESI_Lm4ESC_lEEPKSI_l, .Lfunc_end19-_ZN2at6native12_GLOBAL__N_136nll_loss2d_backward_no_reduce_kernelIN3c108BFloat16EEEvlN5torch10headeronly6detail27GenericPackedTensorAccessorINS7_14TensorAccessorINS3_8ArrayRefIlEElLm2ENS6_16DefaultPtrTraitsElEENS_6detail16IndexBoundsCheckILm3ElEElLm3ESC_lEENS8_INS9_ISB_T_Lm2ESC_lEESG_SI_Lm3ESC_lEENS8_INS9_ISB_SI_Lm3ESC_lEENSF_ILm4ElEESI_Lm4ESC_lEEPKSI_l
                                        ; -- End function
	.set _ZN2at6native12_GLOBAL__N_136nll_loss2d_backward_no_reduce_kernelIN3c108BFloat16EEEvlN5torch10headeronly6detail27GenericPackedTensorAccessorINS7_14TensorAccessorINS3_8ArrayRefIlEElLm2ENS6_16DefaultPtrTraitsElEENS_6detail16IndexBoundsCheckILm3ElEElLm3ESC_lEENS8_INS9_ISB_T_Lm2ESC_lEESG_SI_Lm3ESC_lEENS8_INS9_ISB_SI_Lm3ESC_lEENSF_ILm4ElEESI_Lm4ESC_lEEPKSI_l.num_vgpr, 28
	.set _ZN2at6native12_GLOBAL__N_136nll_loss2d_backward_no_reduce_kernelIN3c108BFloat16EEEvlN5torch10headeronly6detail27GenericPackedTensorAccessorINS7_14TensorAccessorINS3_8ArrayRefIlEElLm2ENS6_16DefaultPtrTraitsElEENS_6detail16IndexBoundsCheckILm3ElEElLm3ESC_lEENS8_INS9_ISB_T_Lm2ESC_lEESG_SI_Lm3ESC_lEENS8_INS9_ISB_SI_Lm3ESC_lEENSF_ILm4ElEESI_Lm4ESC_lEEPKSI_l.num_agpr, 0
	.set _ZN2at6native12_GLOBAL__N_136nll_loss2d_backward_no_reduce_kernelIN3c108BFloat16EEEvlN5torch10headeronly6detail27GenericPackedTensorAccessorINS7_14TensorAccessorINS3_8ArrayRefIlEElLm2ENS6_16DefaultPtrTraitsElEENS_6detail16IndexBoundsCheckILm3ElEElLm3ESC_lEENS8_INS9_ISB_T_Lm2ESC_lEESG_SI_Lm3ESC_lEENS8_INS9_ISB_SI_Lm3ESC_lEENSF_ILm4ElEESI_Lm4ESC_lEEPKSI_l.numbered_sgpr, 71
	.set _ZN2at6native12_GLOBAL__N_136nll_loss2d_backward_no_reduce_kernelIN3c108BFloat16EEEvlN5torch10headeronly6detail27GenericPackedTensorAccessorINS7_14TensorAccessorINS3_8ArrayRefIlEElLm2ENS6_16DefaultPtrTraitsElEENS_6detail16IndexBoundsCheckILm3ElEElLm3ESC_lEENS8_INS9_ISB_T_Lm2ESC_lEESG_SI_Lm3ESC_lEENS8_INS9_ISB_SI_Lm3ESC_lEENSF_ILm4ElEESI_Lm4ESC_lEEPKSI_l.num_named_barrier, 0
	.set _ZN2at6native12_GLOBAL__N_136nll_loss2d_backward_no_reduce_kernelIN3c108BFloat16EEEvlN5torch10headeronly6detail27GenericPackedTensorAccessorINS7_14TensorAccessorINS3_8ArrayRefIlEElLm2ENS6_16DefaultPtrTraitsElEENS_6detail16IndexBoundsCheckILm3ElEElLm3ESC_lEENS8_INS9_ISB_T_Lm2ESC_lEESG_SI_Lm3ESC_lEENS8_INS9_ISB_SI_Lm3ESC_lEENSF_ILm4ElEESI_Lm4ESC_lEEPKSI_l.private_seg_size, 0
	.set _ZN2at6native12_GLOBAL__N_136nll_loss2d_backward_no_reduce_kernelIN3c108BFloat16EEEvlN5torch10headeronly6detail27GenericPackedTensorAccessorINS7_14TensorAccessorINS3_8ArrayRefIlEElLm2ENS6_16DefaultPtrTraitsElEENS_6detail16IndexBoundsCheckILm3ElEElLm3ESC_lEENS8_INS9_ISB_T_Lm2ESC_lEESG_SI_Lm3ESC_lEENS8_INS9_ISB_SI_Lm3ESC_lEENSF_ILm4ElEESI_Lm4ESC_lEEPKSI_l.uses_vcc, 1
	.set _ZN2at6native12_GLOBAL__N_136nll_loss2d_backward_no_reduce_kernelIN3c108BFloat16EEEvlN5torch10headeronly6detail27GenericPackedTensorAccessorINS7_14TensorAccessorINS3_8ArrayRefIlEElLm2ENS6_16DefaultPtrTraitsElEENS_6detail16IndexBoundsCheckILm3ElEElLm3ESC_lEENS8_INS9_ISB_T_Lm2ESC_lEESG_SI_Lm3ESC_lEENS8_INS9_ISB_SI_Lm3ESC_lEENSF_ILm4ElEESI_Lm4ESC_lEEPKSI_l.uses_flat_scratch, 0
	.set _ZN2at6native12_GLOBAL__N_136nll_loss2d_backward_no_reduce_kernelIN3c108BFloat16EEEvlN5torch10headeronly6detail27GenericPackedTensorAccessorINS7_14TensorAccessorINS3_8ArrayRefIlEElLm2ENS6_16DefaultPtrTraitsElEENS_6detail16IndexBoundsCheckILm3ElEElLm3ESC_lEENS8_INS9_ISB_T_Lm2ESC_lEESG_SI_Lm3ESC_lEENS8_INS9_ISB_SI_Lm3ESC_lEENSF_ILm4ElEESI_Lm4ESC_lEEPKSI_l.has_dyn_sized_stack, 0
	.set _ZN2at6native12_GLOBAL__N_136nll_loss2d_backward_no_reduce_kernelIN3c108BFloat16EEEvlN5torch10headeronly6detail27GenericPackedTensorAccessorINS7_14TensorAccessorINS3_8ArrayRefIlEElLm2ENS6_16DefaultPtrTraitsElEENS_6detail16IndexBoundsCheckILm3ElEElLm3ESC_lEENS8_INS9_ISB_T_Lm2ESC_lEESG_SI_Lm3ESC_lEENS8_INS9_ISB_SI_Lm3ESC_lEENSF_ILm4ElEESI_Lm4ESC_lEEPKSI_l.has_recursion, 0
	.set _ZN2at6native12_GLOBAL__N_136nll_loss2d_backward_no_reduce_kernelIN3c108BFloat16EEEvlN5torch10headeronly6detail27GenericPackedTensorAccessorINS7_14TensorAccessorINS3_8ArrayRefIlEElLm2ENS6_16DefaultPtrTraitsElEENS_6detail16IndexBoundsCheckILm3ElEElLm3ESC_lEENS8_INS9_ISB_T_Lm2ESC_lEESG_SI_Lm3ESC_lEENS8_INS9_ISB_SI_Lm3ESC_lEENSF_ILm4ElEESI_Lm4ESC_lEEPKSI_l.has_indirect_call, 0
	.section	.AMDGPU.csdata,"",@progbits
; Kernel info:
; codeLenInByte = 3800
; TotalNumSgprs: 73
; NumVgprs: 28
; ScratchSize: 0
; MemoryBound: 0
; FloatMode: 240
; IeeeMode: 1
; LDSByteSize: 0 bytes/workgroup (compile time only)
; SGPRBlocks: 0
; VGPRBlocks: 1
; NumSGPRsForWavesPerEU: 73
; NumVGPRsForWavesPerEU: 28
; NamedBarCnt: 0
; Occupancy: 16
; WaveLimiterHint : 1
; COMPUTE_PGM_RSRC2:SCRATCH_EN: 0
; COMPUTE_PGM_RSRC2:USER_SGPR: 2
; COMPUTE_PGM_RSRC2:TRAP_HANDLER: 0
; COMPUTE_PGM_RSRC2:TGID_X_EN: 1
; COMPUTE_PGM_RSRC2:TGID_Y_EN: 0
; COMPUTE_PGM_RSRC2:TGID_Z_EN: 0
; COMPUTE_PGM_RSRC2:TIDIG_COMP_CNT: 0
	.section	.text._ZN2at6native12_GLOBAL__N_126nll_loss2d_backward_kernelIdEEvPT_PKS3_PKlS6_S6_biiil,"axG",@progbits,_ZN2at6native12_GLOBAL__N_126nll_loss2d_backward_kernelIdEEvPT_PKS3_PKlS6_S6_biiil,comdat
	.globl	_ZN2at6native12_GLOBAL__N_126nll_loss2d_backward_kernelIdEEvPT_PKS3_PKlS6_S6_biiil ; -- Begin function _ZN2at6native12_GLOBAL__N_126nll_loss2d_backward_kernelIdEEvPT_PKS3_PKlS6_S6_biiil
	.p2align	8
	.type	_ZN2at6native12_GLOBAL__N_126nll_loss2d_backward_kernelIdEEvPT_PKS3_PKlS6_S6_biiil,@function
_ZN2at6native12_GLOBAL__N_126nll_loss2d_backward_kernelIdEEvPT_PKS3_PKlS6_S6_biiil: ; @_ZN2at6native12_GLOBAL__N_126nll_loss2d_backward_kernelIdEEvPT_PKS3_PKlS6_S6_biiil
; %bb.0:
	s_load_b256 s[4:11], s[0:1], 0x0
	s_wait_kmcnt 0x0
	s_load_b64 s[2:3], s[6:7], 0x0
	s_clause 0x1
	s_load_b128 s[12:15], s[0:1], 0x28
	s_load_b64 s[16:17], s[0:1], 0x20
	s_wait_kmcnt 0x0
	v_mov_b64_e32 v[2:3], s[2:3]
	s_bitcmp0_b32 s12, 0
	s_cbranch_scc1 .LBB20_2
; %bb.1:
	s_load_b64 s[6:7], s[16:17], 0x0
	s_wait_kmcnt 0x0
	v_div_scale_f64 v[2:3], null, s[6:7], s[6:7], s[2:3]
	s_delay_alu instid0(VALU_DEP_1) | instskip(SKIP_1) | instid1(TRANS32_DEP_1)
	v_rcp_f64_e32 v[4:5], v[2:3]
	v_nop
	v_fma_f64 v[6:7], -v[2:3], v[4:5], 1.0
	s_delay_alu instid0(VALU_DEP_1) | instskip(NEXT) | instid1(VALU_DEP_1)
	v_fmac_f64_e32 v[4:5], v[4:5], v[6:7]
	v_fma_f64 v[6:7], -v[2:3], v[4:5], 1.0
	s_delay_alu instid0(VALU_DEP_1) | instskip(SKIP_1) | instid1(VALU_DEP_1)
	v_fmac_f64_e32 v[4:5], v[4:5], v[6:7]
	v_div_scale_f64 v[6:7], vcc_lo, s[2:3], s[6:7], s[2:3]
	v_mul_f64_e32 v[8:9], v[6:7], v[4:5]
	s_delay_alu instid0(VALU_DEP_1) | instskip(NEXT) | instid1(VALU_DEP_1)
	v_fma_f64 v[2:3], -v[2:3], v[8:9], v[6:7]
	v_div_fmas_f64 v[2:3], v[2:3], v[4:5], v[8:9]
	s_delay_alu instid0(VALU_DEP_1)
	v_div_fixup_f64 v[2:3], v[2:3], s[6:7], s[2:3]
.LBB20_2:
	s_cvt_f32_u32 s2, s15
	s_sub_co_i32 s3, 0, s15
	s_bfe_u32 s7, ttmp6, 0x4000c
	s_and_b32 s6, ttmp6, 15
	v_rcp_iflag_f32_e32 v1, s2
	s_add_co_i32 s7, s7, 1
	s_getreg_b32 s12, hwreg(HW_REG_IB_STS2, 6, 4)
	s_mul_i32 s7, ttmp9, s7
	s_delay_alu instid0(SALU_CYCLE_1) | instskip(SKIP_1) | instid1(TRANS32_DEP_1)
	s_add_co_i32 s6, s6, s7
	v_nop
	v_readfirstlane_b32 s2, v1
	s_mul_f32 s2, s2, 0x4f7ffffe
	s_delay_alu instid0(SALU_CYCLE_3) | instskip(NEXT) | instid1(SALU_CYCLE_3)
	s_cvt_u32_f32 s2, s2
	s_mul_i32 s3, s3, s2
	s_delay_alu instid0(SALU_CYCLE_1) | instskip(NEXT) | instid1(SALU_CYCLE_1)
	s_mul_hi_u32 s3, s2, s3
	s_add_co_i32 s2, s2, s3
	s_cmp_eq_u32 s12, 0
	s_load_b32 s3, s[0:1], 0x4c
	s_cselect_b32 s7, ttmp9, s6
	s_delay_alu instid0(SALU_CYCLE_1) | instskip(NEXT) | instid1(SALU_CYCLE_1)
	s_mul_hi_u32 s2, s7, s2
	s_mul_i32 s6, s2, s15
	s_add_co_i32 s12, s2, 1
	s_sub_co_i32 s6, s7, s6
	s_delay_alu instid0(SALU_CYCLE_1)
	s_sub_co_i32 s16, s6, s15
	s_cmp_ge_u32 s6, s15
	s_cselect_b32 s2, s12, s2
	s_cselect_b32 s6, s16, s6
	s_add_co_i32 s12, s2, 1
	s_cmp_ge_u32 s6, s15
	s_cselect_b32 s2, s12, s2
	s_delay_alu instid0(SALU_CYCLE_1) | instskip(SKIP_3) | instid1(SALU_CYCLE_1)
	s_mul_i32 s12, s2, s15
	s_wait_kmcnt 0x0
	s_and_b32 s6, s3, 0xffff
	s_sub_co_i32 s3, s7, s12
	v_mad_u32 v0, s3, s6, v0
	s_mov_b32 s3, exec_lo
	s_delay_alu instid0(VALU_DEP_1)
	v_cmpx_gt_i32_e64 s14, v0
	s_cbranch_execz .LBB20_19
; %bb.3:
	s_mul_i32 s16, s2, s14
	s_load_b64 s[2:3], s[0:1], 0x38
	s_mul_i32 s18, s16, s13
	s_ashr_i32 s17, s16, 31
	s_ashr_i32 s19, s18, 31
	;; [unrolled: 1-line block ×3, first 2 shown]
	s_lshl_b64 s[18:19], s[18:19], 3
	s_wait_xcnt 0x0
	s_ashr_i32 s1, s14, 31
	s_cmp_lg_u64 s[10:11], 0
	v_dual_mov_b32 v4, v2 :: v_dual_ashrrev_i32 v1, 31, v0
	s_cselect_b32 s12, -1, 0
	s_lshl_b64 s[20:21], s[16:17], 3
	s_mul_i32 s16, s15, s6
	s_add_nc_u64 s[8:9], s[8:9], s[20:21]
	v_xor_b32_e32 v5, 0x80000000, v3
	v_lshl_add_u64 v[6:7], v[0:1], 3, s[8:9]
	s_ashr_i32 s17, s16, 31
	s_add_nc_u64 s[4:5], s[4:5], s[18:19]
	s_mov_b32 s6, s13
	s_lshl_b64 s[8:9], s[16:17], 3
	s_mov_b32 s15, 0
                                        ; implicit-def: $sgpr18
                                        ; implicit-def: $sgpr13
                                        ; implicit-def: $sgpr19
                                        ; implicit-def: $sgpr20
	s_branch .LBB20_5
.LBB20_4:                               ;   in Loop: Header=BB20_5 Depth=1
	s_or_b32 exec_lo, exec_lo, s22
	s_delay_alu instid0(SALU_CYCLE_1) | instskip(NEXT) | instid1(SALU_CYCLE_1)
	s_and_b32 s0, exec_lo, s21
	s_or_b32 s15, s0, s15
	s_and_not1_b32 s0, s13, exec_lo
	s_and_b32 s13, s20, exec_lo
	s_and_not1_b32 s18, s18, exec_lo
	s_and_b32 s21, s19, exec_lo
	s_or_b32 s13, s0, s13
	s_or_b32 s18, s18, s21
	s_and_not1_b32 exec_lo, exec_lo, s15
	s_cbranch_execz .LBB20_15
.LBB20_5:                               ; =>This Inner Loop Header: Depth=1
	global_load_b64 v[8:9], v[6:7], off
	s_mov_b32 s21, -1
	s_mov_b32 s0, -1
	s_mov_b32 s22, exec_lo
                                        ; implicit-def: $sgpr23
                                        ; implicit-def: $sgpr24
	s_wait_loadcnt 0x0
	s_wait_kmcnt 0x0
	s_wait_xcnt 0x0
	v_cmpx_ne_u64_e64 s[2:3], v[8:9]
	s_cbranch_execz .LBB20_13
; %bb.6:                                ;   in Loop: Header=BB20_5 Depth=1
	v_cmp_lt_i64_e32 vcc_lo, -1, v[8:9]
	v_cmp_gt_i64_e64 s0, s[6:7], v[8:9]
	s_mov_b32 s23, -1
	s_mov_b32 s25, 0
	s_mov_b32 s24, 0
	s_and_b32 s26, vcc_lo, s0
	s_delay_alu instid0(SALU_CYCLE_1)
	s_and_saveexec_b32 s0, s26
	s_cbranch_execz .LBB20_12
; %bb.7:                                ;   in Loop: Header=BB20_5 Depth=1
	v_mad_nc_u64_u32 v[10:11], v8, s14, v[0:1]
	s_mov_b32 s23, exec_lo
	s_delay_alu instid0(VALU_DEP_1) | instskip(NEXT) | instid1(VALU_DEP_1)
	v_mad_u32 v11, v9, s14, v11
	v_mad_u32 v11, v8, s1, v11
	s_delay_alu instid0(VALU_DEP_1)
	v_cmpx_lt_i64_e32 -1, v[10:11]
	s_cbranch_execz .LBB20_11
; %bb.8:                                ;   in Loop: Header=BB20_5 Depth=1
	v_mov_b64_e32 v[12:13], v[4:5]
	s_and_not1_b32 vcc_lo, exec_lo, s12
	s_cbranch_vccnz .LBB20_10
; %bb.9:                                ;   in Loop: Header=BB20_5 Depth=1
	v_lshl_add_u64 v[8:9], v[8:9], 3, s[10:11]
	global_load_b64 v[8:9], v[8:9], off
	s_wait_loadcnt 0x0
	v_mul_f64_e64 v[12:13], v[8:9], -v[2:3]
.LBB20_10:                              ;   in Loop: Header=BB20_5 Depth=1
	s_wait_xcnt 0x0
	v_lshl_add_u64 v[8:9], v[10:11], 3, s[4:5]
	s_mov_b32 s25, exec_lo
	global_store_b64 v[8:9], v[12:13], off
.LBB20_11:                              ;   in Loop: Header=BB20_5 Depth=1
	s_wait_xcnt 0x0
	s_or_b32 exec_lo, exec_lo, s23
	s_delay_alu instid0(SALU_CYCLE_1)
	s_mov_b32 s24, exec_lo
	s_xor_b32 s23, exec_lo, -1
	s_and_b32 s25, s25, exec_lo
.LBB20_12:                              ;   in Loop: Header=BB20_5 Depth=1
	s_or_b32 exec_lo, exec_lo, s0
	s_delay_alu instid0(SALU_CYCLE_1)
	s_or_not1_b32 s0, s25, exec_lo
.LBB20_13:                              ;   in Loop: Header=BB20_5 Depth=1
	s_or_b32 exec_lo, exec_lo, s22
	s_delay_alu instid0(SALU_CYCLE_1)
	s_and_not1_b32 s20, s20, exec_lo
	s_and_b32 s22, s24, exec_lo
	s_and_not1_b32 s19, s19, exec_lo
	s_and_b32 s23, s23, exec_lo
	s_or_b32 s20, s20, s22
	s_or_b32 s19, s19, s23
	s_and_saveexec_b32 s22, s0
	s_cbranch_execz .LBB20_4
; %bb.14:                               ;   in Loop: Header=BB20_5 Depth=1
	v_add_nc_u64_e32 v[0:1], s[16:17], v[0:1]
	v_add_nc_u64_e32 v[6:7], s[8:9], v[6:7]
	s_and_not1_b32 s20, s20, exec_lo
	s_and_not1_b32 s19, s19, exec_lo
	s_delay_alu instid0(VALU_DEP_2)
	v_cmp_le_i32_e32 vcc_lo, s14, v0
	s_or_not1_b32 s21, vcc_lo, exec_lo
	s_branch .LBB20_4
.LBB20_15:
	s_or_b32 exec_lo, exec_lo, s15
	s_xor_b32 s1, s18, -1
	s_mov_b32 s0, 0
	s_and_saveexec_b32 s2, s1
	s_delay_alu instid0(SALU_CYCLE_1)
	s_xor_b32 s1, exec_lo, s2
	s_cbranch_execnz .LBB20_20
; %bb.16:
	s_and_not1_saveexec_b32 s1, s1
	s_cbranch_execnz .LBB20_22
.LBB20_17:
	s_or_b32 exec_lo, exec_lo, s1
	s_delay_alu instid0(SALU_CYCLE_1)
	s_and_b32 exec_lo, exec_lo, s0
.LBB20_18:
	; divergent unreachable
.LBB20_19:
	s_endpgm
.LBB20_20:
	s_and_saveexec_b32 s2, s13
	s_delay_alu instid0(SALU_CYCLE_1)
	s_xor_b32 s2, exec_lo, s2
	s_cbranch_execnz .LBB20_23
.LBB20_21:
	s_or_b32 exec_lo, exec_lo, s2
	s_delay_alu instid0(SALU_CYCLE_1)
	s_and_b32 s0, s0, exec_lo
	s_and_not1_saveexec_b32 s1, s1
	s_cbranch_execz .LBB20_17
.LBB20_22:
	s_or_b32 s0, s0, exec_lo
	s_trap 2
	s_or_b32 exec_lo, exec_lo, s1
	s_delay_alu instid0(SALU_CYCLE_1)
	s_and_b32 exec_lo, exec_lo, s0
	s_cbranch_execnz .LBB20_18
	s_branch .LBB20_19
.LBB20_23:
	s_mov_b32 s0, exec_lo
	s_trap 2
	s_branch .LBB20_21
	.section	.rodata,"a",@progbits
	.p2align	6, 0x0
	.amdhsa_kernel _ZN2at6native12_GLOBAL__N_126nll_loss2d_backward_kernelIdEEvPT_PKS3_PKlS6_S6_biiil
		.amdhsa_group_segment_fixed_size 0
		.amdhsa_private_segment_fixed_size 0
		.amdhsa_kernarg_size 320
		.amdhsa_user_sgpr_count 2
		.amdhsa_user_sgpr_dispatch_ptr 0
		.amdhsa_user_sgpr_queue_ptr 0
		.amdhsa_user_sgpr_kernarg_segment_ptr 1
		.amdhsa_user_sgpr_dispatch_id 0
		.amdhsa_user_sgpr_kernarg_preload_length 0
		.amdhsa_user_sgpr_kernarg_preload_offset 0
		.amdhsa_user_sgpr_private_segment_size 0
		.amdhsa_wavefront_size32 1
		.amdhsa_uses_dynamic_stack 0
		.amdhsa_enable_private_segment 0
		.amdhsa_system_sgpr_workgroup_id_x 1
		.amdhsa_system_sgpr_workgroup_id_y 0
		.amdhsa_system_sgpr_workgroup_id_z 0
		.amdhsa_system_sgpr_workgroup_info 0
		.amdhsa_system_vgpr_workitem_id 0
		.amdhsa_next_free_vgpr 14
		.amdhsa_next_free_sgpr 27
		.amdhsa_named_barrier_count 0
		.amdhsa_reserve_vcc 1
		.amdhsa_float_round_mode_32 0
		.amdhsa_float_round_mode_16_64 0
		.amdhsa_float_denorm_mode_32 3
		.amdhsa_float_denorm_mode_16_64 3
		.amdhsa_fp16_overflow 0
		.amdhsa_memory_ordered 1
		.amdhsa_forward_progress 1
		.amdhsa_inst_pref_size 8
		.amdhsa_round_robin_scheduling 0
		.amdhsa_exception_fp_ieee_invalid_op 0
		.amdhsa_exception_fp_denorm_src 0
		.amdhsa_exception_fp_ieee_div_zero 0
		.amdhsa_exception_fp_ieee_overflow 0
		.amdhsa_exception_fp_ieee_underflow 0
		.amdhsa_exception_fp_ieee_inexact 0
		.amdhsa_exception_int_div_zero 0
	.end_amdhsa_kernel
	.section	.text._ZN2at6native12_GLOBAL__N_126nll_loss2d_backward_kernelIdEEvPT_PKS3_PKlS6_S6_biiil,"axG",@progbits,_ZN2at6native12_GLOBAL__N_126nll_loss2d_backward_kernelIdEEvPT_PKS3_PKlS6_S6_biiil,comdat
.Lfunc_end20:
	.size	_ZN2at6native12_GLOBAL__N_126nll_loss2d_backward_kernelIdEEvPT_PKS3_PKlS6_S6_biiil, .Lfunc_end20-_ZN2at6native12_GLOBAL__N_126nll_loss2d_backward_kernelIdEEvPT_PKS3_PKlS6_S6_biiil
                                        ; -- End function
	.set _ZN2at6native12_GLOBAL__N_126nll_loss2d_backward_kernelIdEEvPT_PKS3_PKlS6_S6_biiil.num_vgpr, 14
	.set _ZN2at6native12_GLOBAL__N_126nll_loss2d_backward_kernelIdEEvPT_PKS3_PKlS6_S6_biiil.num_agpr, 0
	.set _ZN2at6native12_GLOBAL__N_126nll_loss2d_backward_kernelIdEEvPT_PKS3_PKlS6_S6_biiil.numbered_sgpr, 27
	.set _ZN2at6native12_GLOBAL__N_126nll_loss2d_backward_kernelIdEEvPT_PKS3_PKlS6_S6_biiil.num_named_barrier, 0
	.set _ZN2at6native12_GLOBAL__N_126nll_loss2d_backward_kernelIdEEvPT_PKS3_PKlS6_S6_biiil.private_seg_size, 0
	.set _ZN2at6native12_GLOBAL__N_126nll_loss2d_backward_kernelIdEEvPT_PKS3_PKlS6_S6_biiil.uses_vcc, 1
	.set _ZN2at6native12_GLOBAL__N_126nll_loss2d_backward_kernelIdEEvPT_PKS3_PKlS6_S6_biiil.uses_flat_scratch, 0
	.set _ZN2at6native12_GLOBAL__N_126nll_loss2d_backward_kernelIdEEvPT_PKS3_PKlS6_S6_biiil.has_dyn_sized_stack, 0
	.set _ZN2at6native12_GLOBAL__N_126nll_loss2d_backward_kernelIdEEvPT_PKS3_PKlS6_S6_biiil.has_recursion, 0
	.set _ZN2at6native12_GLOBAL__N_126nll_loss2d_backward_kernelIdEEvPT_PKS3_PKlS6_S6_biiil.has_indirect_call, 0
	.section	.AMDGPU.csdata,"",@progbits
; Kernel info:
; codeLenInByte = 964
; TotalNumSgprs: 29
; NumVgprs: 14
; ScratchSize: 0
; MemoryBound: 0
; FloatMode: 240
; IeeeMode: 1
; LDSByteSize: 0 bytes/workgroup (compile time only)
; SGPRBlocks: 0
; VGPRBlocks: 0
; NumSGPRsForWavesPerEU: 29
; NumVGPRsForWavesPerEU: 14
; NamedBarCnt: 0
; Occupancy: 16
; WaveLimiterHint : 1
; COMPUTE_PGM_RSRC2:SCRATCH_EN: 0
; COMPUTE_PGM_RSRC2:USER_SGPR: 2
; COMPUTE_PGM_RSRC2:TRAP_HANDLER: 0
; COMPUTE_PGM_RSRC2:TGID_X_EN: 1
; COMPUTE_PGM_RSRC2:TGID_Y_EN: 0
; COMPUTE_PGM_RSRC2:TGID_Z_EN: 0
; COMPUTE_PGM_RSRC2:TIDIG_COMP_CNT: 0
	.section	.text._ZN2at6native12_GLOBAL__N_126nll_loss2d_backward_kernelIfEEvPT_PKS3_PKlS6_S6_biiil,"axG",@progbits,_ZN2at6native12_GLOBAL__N_126nll_loss2d_backward_kernelIfEEvPT_PKS3_PKlS6_S6_biiil,comdat
	.globl	_ZN2at6native12_GLOBAL__N_126nll_loss2d_backward_kernelIfEEvPT_PKS3_PKlS6_S6_biiil ; -- Begin function _ZN2at6native12_GLOBAL__N_126nll_loss2d_backward_kernelIfEEvPT_PKS3_PKlS6_S6_biiil
	.p2align	8
	.type	_ZN2at6native12_GLOBAL__N_126nll_loss2d_backward_kernelIfEEvPT_PKS3_PKlS6_S6_biiil,@function
_ZN2at6native12_GLOBAL__N_126nll_loss2d_backward_kernelIfEEvPT_PKS3_PKlS6_S6_biiil: ; @_ZN2at6native12_GLOBAL__N_126nll_loss2d_backward_kernelIfEEvPT_PKS3_PKlS6_S6_biiil
; %bb.0:
	s_load_b256 s[4:11], s[0:1], 0x0
	s_wait_kmcnt 0x0
	s_load_b32 s16, s[6:7], 0x0
	s_clause 0x1
	s_load_b128 s[12:15], s[0:1], 0x28
	s_load_b64 s[2:3], s[0:1], 0x20
	s_wait_kmcnt 0x0
	v_mov_b32_e32 v8, s16
	s_bitcmp0_b32 s12, 0
	s_cbranch_scc1 .LBB21_2
; %bb.1:
	s_load_b32 s2, s[2:3], 0x0
	s_wait_kmcnt 0x0
	v_div_scale_f32 v1, null, s2, s2, s16
	s_delay_alu instid0(VALU_DEP_1)
	v_rcp_f32_e32 v2, v1
	v_nop
	v_xor_b32_e32 v1, 0x80000000, v1
	s_delay_alu instid0(TRANS32_DEP_1) | instid1(VALU_DEP_1)
	v_fma_f32 v3, v1, v2, 1.0
	s_delay_alu instid0(VALU_DEP_1) | instskip(SKIP_1) | instid1(VALU_DEP_1)
	v_fmac_f32_e32 v2, v3, v2
	v_div_scale_f32 v3, vcc_lo, s16, s2, s16
	v_mul_f32_e32 v4, v3, v2
	s_delay_alu instid0(VALU_DEP_1) | instskip(NEXT) | instid1(VALU_DEP_1)
	v_fma_f32 v5, v1, v4, v3
	v_fmac_f32_e32 v4, v5, v2
	s_delay_alu instid0(VALU_DEP_1) | instskip(NEXT) | instid1(VALU_DEP_1)
	v_fmac_f32_e32 v3, v1, v4
	v_div_fmas_f32 v1, v3, v2, v4
	s_delay_alu instid0(VALU_DEP_1)
	v_div_fixup_f32 v8, v1, s2, s16
.LBB21_2:
	s_cvt_f32_u32 s2, s15
	s_sub_co_i32 s3, 0, s15
	s_bfe_u32 s7, ttmp6, 0x4000c
	s_and_b32 s6, ttmp6, 15
	v_rcp_iflag_f32_e32 v1, s2
	s_add_co_i32 s7, s7, 1
	s_getreg_b32 s12, hwreg(HW_REG_IB_STS2, 6, 4)
	s_mul_i32 s7, ttmp9, s7
	s_delay_alu instid0(SALU_CYCLE_1) | instskip(SKIP_1) | instid1(TRANS32_DEP_1)
	s_add_co_i32 s6, s6, s7
	v_nop
	v_readfirstlane_b32 s2, v1
	s_mul_f32 s2, s2, 0x4f7ffffe
	s_delay_alu instid0(SALU_CYCLE_3) | instskip(NEXT) | instid1(SALU_CYCLE_3)
	s_cvt_u32_f32 s2, s2
	s_mul_i32 s3, s3, s2
	s_delay_alu instid0(SALU_CYCLE_1) | instskip(NEXT) | instid1(SALU_CYCLE_1)
	s_mul_hi_u32 s3, s2, s3
	s_add_co_i32 s2, s2, s3
	s_cmp_eq_u32 s12, 0
	s_load_b32 s3, s[0:1], 0x4c
	s_cselect_b32 s7, ttmp9, s6
	s_delay_alu instid0(SALU_CYCLE_1) | instskip(NEXT) | instid1(SALU_CYCLE_1)
	s_mul_hi_u32 s2, s7, s2
	s_mul_i32 s6, s2, s15
	s_add_co_i32 s12, s2, 1
	s_sub_co_i32 s6, s7, s6
	s_delay_alu instid0(SALU_CYCLE_1)
	s_sub_co_i32 s16, s6, s15
	s_cmp_ge_u32 s6, s15
	s_cselect_b32 s2, s12, s2
	s_cselect_b32 s6, s16, s6
	s_add_co_i32 s12, s2, 1
	s_cmp_ge_u32 s6, s15
	s_cselect_b32 s2, s12, s2
	s_delay_alu instid0(SALU_CYCLE_1) | instskip(SKIP_3) | instid1(SALU_CYCLE_1)
	s_mul_i32 s12, s2, s15
	s_wait_kmcnt 0x0
	s_and_b32 s6, s3, 0xffff
	s_sub_co_i32 s3, s7, s12
	v_mad_u32 v0, s3, s6, v0
	s_mov_b32 s3, exec_lo
	s_delay_alu instid0(VALU_DEP_1)
	v_cmpx_gt_i32_e64 s14, v0
	s_cbranch_execz .LBB21_19
; %bb.3:
	s_mul_i32 s16, s2, s14
	s_load_b64 s[2:3], s[0:1], 0x38
	s_wait_xcnt 0x0
	s_mul_i32 s0, s16, s13
	s_ashr_i32 s7, s13, 31
	s_ashr_i32 s1, s0, 31
	;; [unrolled: 1-line block ×3, first 2 shown]
	s_lshl_b64 s[18:19], s[0:1], 2
	s_ashr_i32 s1, s14, 31
	s_cmp_lg_u64 s[10:11], 0
	v_ashrrev_i32_e32 v1, 31, v0
	s_cselect_b32 s12, -1, 0
	s_lshl_b64 s[20:21], s[16:17], 3
	s_mul_i32 s16, s15, s6
	s_add_nc_u64 s[8:9], s[8:9], s[20:21]
	v_xor_b32_e32 v9, 0x80000000, v8
	v_lshl_add_u64 v[2:3], v[0:1], 3, s[8:9]
	s_ashr_i32 s17, s16, 31
	s_add_nc_u64 s[4:5], s[4:5], s[18:19]
	s_mov_b32 s6, s13
	s_lshl_b64 s[8:9], s[16:17], 3
	s_mov_b32 s15, 0
                                        ; implicit-def: $sgpr18
                                        ; implicit-def: $sgpr13
                                        ; implicit-def: $sgpr19
                                        ; implicit-def: $sgpr20
	s_branch .LBB21_5
.LBB21_4:                               ;   in Loop: Header=BB21_5 Depth=1
	s_or_b32 exec_lo, exec_lo, s22
	s_delay_alu instid0(SALU_CYCLE_1) | instskip(NEXT) | instid1(SALU_CYCLE_1)
	s_and_b32 s0, exec_lo, s21
	s_or_b32 s15, s0, s15
	s_and_not1_b32 s0, s13, exec_lo
	s_and_b32 s13, s20, exec_lo
	s_and_not1_b32 s18, s18, exec_lo
	s_and_b32 s21, s19, exec_lo
	s_or_b32 s13, s0, s13
	s_or_b32 s18, s18, s21
	s_and_not1_b32 exec_lo, exec_lo, s15
	s_cbranch_execz .LBB21_15
.LBB21_5:                               ; =>This Inner Loop Header: Depth=1
	global_load_b64 v[4:5], v[2:3], off
	s_mov_b32 s21, -1
	s_mov_b32 s0, -1
	s_mov_b32 s22, exec_lo
                                        ; implicit-def: $sgpr23
                                        ; implicit-def: $sgpr24
	s_wait_loadcnt 0x0
	s_wait_kmcnt 0x0
	s_wait_xcnt 0x0
	v_cmpx_ne_u64_e64 s[2:3], v[4:5]
	s_cbranch_execz .LBB21_13
; %bb.6:                                ;   in Loop: Header=BB21_5 Depth=1
	v_cmp_lt_i64_e32 vcc_lo, -1, v[4:5]
	v_cmp_gt_i64_e64 s0, s[6:7], v[4:5]
	s_mov_b32 s23, -1
	s_mov_b32 s25, 0
	s_mov_b32 s24, 0
	s_and_b32 s26, vcc_lo, s0
	s_delay_alu instid0(SALU_CYCLE_1)
	s_and_saveexec_b32 s0, s26
	s_cbranch_execz .LBB21_12
; %bb.7:                                ;   in Loop: Header=BB21_5 Depth=1
	v_mad_nc_u64_u32 v[6:7], v4, s14, v[0:1]
	s_mov_b32 s23, exec_lo
	s_delay_alu instid0(VALU_DEP_1) | instskip(NEXT) | instid1(VALU_DEP_1)
	v_mad_u32 v7, v5, s14, v7
	v_mad_u32 v7, v4, s1, v7
	s_delay_alu instid0(VALU_DEP_1)
	v_cmpx_lt_i64_e32 -1, v[6:7]
	s_cbranch_execz .LBB21_11
; %bb.8:                                ;   in Loop: Header=BB21_5 Depth=1
	v_mov_b32_e32 v10, v9
	s_and_not1_b32 vcc_lo, exec_lo, s12
	s_cbranch_vccnz .LBB21_10
; %bb.9:                                ;   in Loop: Header=BB21_5 Depth=1
	v_lshl_add_u64 v[4:5], v[4:5], 2, s[10:11]
	global_load_b32 v4, v[4:5], off
	s_wait_loadcnt 0x0
	v_mul_f32_e64 v10, v4, -v8
.LBB21_10:                              ;   in Loop: Header=BB21_5 Depth=1
	s_wait_xcnt 0x0
	v_lshl_add_u64 v[4:5], v[6:7], 2, s[4:5]
	s_mov_b32 s25, exec_lo
	global_store_b32 v[4:5], v10, off
.LBB21_11:                              ;   in Loop: Header=BB21_5 Depth=1
	s_wait_xcnt 0x0
	s_or_b32 exec_lo, exec_lo, s23
	s_delay_alu instid0(SALU_CYCLE_1)
	s_mov_b32 s24, exec_lo
	s_xor_b32 s23, exec_lo, -1
	s_and_b32 s25, s25, exec_lo
.LBB21_12:                              ;   in Loop: Header=BB21_5 Depth=1
	s_or_b32 exec_lo, exec_lo, s0
	s_delay_alu instid0(SALU_CYCLE_1)
	s_or_not1_b32 s0, s25, exec_lo
.LBB21_13:                              ;   in Loop: Header=BB21_5 Depth=1
	s_or_b32 exec_lo, exec_lo, s22
	s_delay_alu instid0(SALU_CYCLE_1)
	s_and_not1_b32 s20, s20, exec_lo
	s_and_b32 s22, s24, exec_lo
	s_and_not1_b32 s19, s19, exec_lo
	s_and_b32 s23, s23, exec_lo
	s_or_b32 s20, s20, s22
	s_or_b32 s19, s19, s23
	s_and_saveexec_b32 s22, s0
	s_cbranch_execz .LBB21_4
; %bb.14:                               ;   in Loop: Header=BB21_5 Depth=1
	v_add_nc_u64_e32 v[0:1], s[16:17], v[0:1]
	v_add_nc_u64_e32 v[2:3], s[8:9], v[2:3]
	s_and_not1_b32 s20, s20, exec_lo
	s_and_not1_b32 s19, s19, exec_lo
	s_delay_alu instid0(VALU_DEP_2)
	v_cmp_le_i32_e32 vcc_lo, s14, v0
	s_or_not1_b32 s21, vcc_lo, exec_lo
	s_branch .LBB21_4
.LBB21_15:
	s_or_b32 exec_lo, exec_lo, s15
	s_xor_b32 s1, s18, -1
	s_mov_b32 s0, 0
	s_and_saveexec_b32 s2, s1
	s_delay_alu instid0(SALU_CYCLE_1)
	s_xor_b32 s1, exec_lo, s2
	s_cbranch_execnz .LBB21_20
; %bb.16:
	s_and_not1_saveexec_b32 s1, s1
	s_cbranch_execnz .LBB21_22
.LBB21_17:
	s_or_b32 exec_lo, exec_lo, s1
	s_delay_alu instid0(SALU_CYCLE_1)
	s_and_b32 exec_lo, exec_lo, s0
.LBB21_18:
	; divergent unreachable
.LBB21_19:
	s_endpgm
.LBB21_20:
	s_and_saveexec_b32 s2, s13
	s_delay_alu instid0(SALU_CYCLE_1)
	s_xor_b32 s2, exec_lo, s2
	s_cbranch_execnz .LBB21_23
.LBB21_21:
	s_or_b32 exec_lo, exec_lo, s2
	s_delay_alu instid0(SALU_CYCLE_1)
	s_and_b32 s0, s0, exec_lo
	s_and_not1_saveexec_b32 s1, s1
	s_cbranch_execz .LBB21_17
.LBB21_22:
	s_or_b32 s0, s0, exec_lo
	s_trap 2
	s_or_b32 exec_lo, exec_lo, s1
	s_delay_alu instid0(SALU_CYCLE_1)
	s_and_b32 exec_lo, exec_lo, s0
	s_cbranch_execnz .LBB21_18
	s_branch .LBB21_19
.LBB21_23:
	s_mov_b32 s0, exec_lo
	s_trap 2
	s_branch .LBB21_21
	.section	.rodata,"a",@progbits
	.p2align	6, 0x0
	.amdhsa_kernel _ZN2at6native12_GLOBAL__N_126nll_loss2d_backward_kernelIfEEvPT_PKS3_PKlS6_S6_biiil
		.amdhsa_group_segment_fixed_size 0
		.amdhsa_private_segment_fixed_size 0
		.amdhsa_kernarg_size 320
		.amdhsa_user_sgpr_count 2
		.amdhsa_user_sgpr_dispatch_ptr 0
		.amdhsa_user_sgpr_queue_ptr 0
		.amdhsa_user_sgpr_kernarg_segment_ptr 1
		.amdhsa_user_sgpr_dispatch_id 0
		.amdhsa_user_sgpr_kernarg_preload_length 0
		.amdhsa_user_sgpr_kernarg_preload_offset 0
		.amdhsa_user_sgpr_private_segment_size 0
		.amdhsa_wavefront_size32 1
		.amdhsa_uses_dynamic_stack 0
		.amdhsa_enable_private_segment 0
		.amdhsa_system_sgpr_workgroup_id_x 1
		.amdhsa_system_sgpr_workgroup_id_y 0
		.amdhsa_system_sgpr_workgroup_id_z 0
		.amdhsa_system_sgpr_workgroup_info 0
		.amdhsa_system_vgpr_workitem_id 0
		.amdhsa_next_free_vgpr 11
		.amdhsa_next_free_sgpr 27
		.amdhsa_named_barrier_count 0
		.amdhsa_reserve_vcc 1
		.amdhsa_float_round_mode_32 0
		.amdhsa_float_round_mode_16_64 0
		.amdhsa_float_denorm_mode_32 3
		.amdhsa_float_denorm_mode_16_64 3
		.amdhsa_fp16_overflow 0
		.amdhsa_memory_ordered 1
		.amdhsa_forward_progress 1
		.amdhsa_inst_pref_size 8
		.amdhsa_round_robin_scheduling 0
		.amdhsa_exception_fp_ieee_invalid_op 0
		.amdhsa_exception_fp_denorm_src 0
		.amdhsa_exception_fp_ieee_div_zero 0
		.amdhsa_exception_fp_ieee_overflow 0
		.amdhsa_exception_fp_ieee_underflow 0
		.amdhsa_exception_fp_ieee_inexact 0
		.amdhsa_exception_int_div_zero 0
	.end_amdhsa_kernel
	.section	.text._ZN2at6native12_GLOBAL__N_126nll_loss2d_backward_kernelIfEEvPT_PKS3_PKlS6_S6_biiil,"axG",@progbits,_ZN2at6native12_GLOBAL__N_126nll_loss2d_backward_kernelIfEEvPT_PKS3_PKlS6_S6_biiil,comdat
.Lfunc_end21:
	.size	_ZN2at6native12_GLOBAL__N_126nll_loss2d_backward_kernelIfEEvPT_PKS3_PKlS6_S6_biiil, .Lfunc_end21-_ZN2at6native12_GLOBAL__N_126nll_loss2d_backward_kernelIfEEvPT_PKS3_PKlS6_S6_biiil
                                        ; -- End function
	.set _ZN2at6native12_GLOBAL__N_126nll_loss2d_backward_kernelIfEEvPT_PKS3_PKlS6_S6_biiil.num_vgpr, 11
	.set _ZN2at6native12_GLOBAL__N_126nll_loss2d_backward_kernelIfEEvPT_PKS3_PKlS6_S6_biiil.num_agpr, 0
	.set _ZN2at6native12_GLOBAL__N_126nll_loss2d_backward_kernelIfEEvPT_PKS3_PKlS6_S6_biiil.numbered_sgpr, 27
	.set _ZN2at6native12_GLOBAL__N_126nll_loss2d_backward_kernelIfEEvPT_PKS3_PKlS6_S6_biiil.num_named_barrier, 0
	.set _ZN2at6native12_GLOBAL__N_126nll_loss2d_backward_kernelIfEEvPT_PKS3_PKlS6_S6_biiil.private_seg_size, 0
	.set _ZN2at6native12_GLOBAL__N_126nll_loss2d_backward_kernelIfEEvPT_PKS3_PKlS6_S6_biiil.uses_vcc, 1
	.set _ZN2at6native12_GLOBAL__N_126nll_loss2d_backward_kernelIfEEvPT_PKS3_PKlS6_S6_biiil.uses_flat_scratch, 0
	.set _ZN2at6native12_GLOBAL__N_126nll_loss2d_backward_kernelIfEEvPT_PKS3_PKlS6_S6_biiil.has_dyn_sized_stack, 0
	.set _ZN2at6native12_GLOBAL__N_126nll_loss2d_backward_kernelIfEEvPT_PKS3_PKlS6_S6_biiil.has_recursion, 0
	.set _ZN2at6native12_GLOBAL__N_126nll_loss2d_backward_kernelIfEEvPT_PKS3_PKlS6_S6_biiil.has_indirect_call, 0
	.section	.AMDGPU.csdata,"",@progbits
; Kernel info:
; codeLenInByte = 968
; TotalNumSgprs: 29
; NumVgprs: 11
; ScratchSize: 0
; MemoryBound: 0
; FloatMode: 240
; IeeeMode: 1
; LDSByteSize: 0 bytes/workgroup (compile time only)
; SGPRBlocks: 0
; VGPRBlocks: 0
; NumSGPRsForWavesPerEU: 29
; NumVGPRsForWavesPerEU: 11
; NamedBarCnt: 0
; Occupancy: 16
; WaveLimiterHint : 1
; COMPUTE_PGM_RSRC2:SCRATCH_EN: 0
; COMPUTE_PGM_RSRC2:USER_SGPR: 2
; COMPUTE_PGM_RSRC2:TRAP_HANDLER: 0
; COMPUTE_PGM_RSRC2:TGID_X_EN: 1
; COMPUTE_PGM_RSRC2:TGID_Y_EN: 0
; COMPUTE_PGM_RSRC2:TGID_Z_EN: 0
; COMPUTE_PGM_RSRC2:TIDIG_COMP_CNT: 0
	.section	.text._ZN2at6native12_GLOBAL__N_126nll_loss2d_backward_kernelIN3c104HalfEEEvPT_PKS5_PKlS8_S8_biiil,"axG",@progbits,_ZN2at6native12_GLOBAL__N_126nll_loss2d_backward_kernelIN3c104HalfEEEvPT_PKS5_PKlS8_S8_biiil,comdat
	.globl	_ZN2at6native12_GLOBAL__N_126nll_loss2d_backward_kernelIN3c104HalfEEEvPT_PKS5_PKlS8_S8_biiil ; -- Begin function _ZN2at6native12_GLOBAL__N_126nll_loss2d_backward_kernelIN3c104HalfEEEvPT_PKS5_PKlS8_S8_biiil
	.p2align	8
	.type	_ZN2at6native12_GLOBAL__N_126nll_loss2d_backward_kernelIN3c104HalfEEEvPT_PKS5_PKlS8_S8_biiil,@function
_ZN2at6native12_GLOBAL__N_126nll_loss2d_backward_kernelIN3c104HalfEEEvPT_PKS5_PKlS8_S8_biiil: ; @_ZN2at6native12_GLOBAL__N_126nll_loss2d_backward_kernelIN3c104HalfEEEvPT_PKS5_PKlS8_S8_biiil
; %bb.0:
	s_load_b256 s[4:11], s[0:1], 0x0
	v_mov_b32_e32 v1, 0
	s_wait_kmcnt 0x0
	global_load_u16 v8, v1, s[6:7]
	s_clause 0x1
	s_load_b128 s[12:15], s[0:1], 0x28
	s_load_b64 s[2:3], s[0:1], 0x20
	s_wait_kmcnt 0x0
	s_bitcmp0_b32 s12, 0
	s_cbranch_scc1 .LBB22_2
; %bb.1:
	global_load_u16 v1, v1, s[2:3]
	s_wait_loadcnt 0x1
	v_cvt_f32_f16_e32 v3, v8
	s_wait_loadcnt 0x0
	v_cvt_f32_f16_e32 v2, v1
	s_delay_alu instid0(VALU_DEP_1) | instskip(SKIP_1) | instid1(TRANS32_DEP_1)
	v_rcp_f32_e32 v2, v2
	v_nop
	v_mul_f32_e32 v3, v3, v2
	s_delay_alu instid0(VALU_DEP_1) | instskip(NEXT) | instid1(VALU_DEP_1)
	v_fma_mix_f32 v4, -v1, v3, v8 op_sel_hi:[1,0,1]
	v_fmac_f32_e32 v3, v4, v2
	s_delay_alu instid0(VALU_DEP_1) | instskip(NEXT) | instid1(VALU_DEP_1)
	v_fma_mix_f32 v4, -v1, v3, v8 op_sel_hi:[1,0,1]
	v_mul_f32_e32 v2, v4, v2
	s_delay_alu instid0(VALU_DEP_1) | instskip(NEXT) | instid1(VALU_DEP_1)
	v_and_b32_e32 v2, 0xff800000, v2
	v_add_f32_e32 v2, v2, v3
	s_delay_alu instid0(VALU_DEP_1) | instskip(NEXT) | instid1(VALU_DEP_1)
	v_cvt_f16_f32_e32 v2, v2
	v_div_fixup_f16 v8, v2, v1, v8
.LBB22_2:
	s_cvt_f32_u32 s2, s15
	s_sub_co_i32 s3, 0, s15
	s_bfe_u32 s7, ttmp6, 0x4000c
	s_and_b32 s6, ttmp6, 15
	v_rcp_iflag_f32_e32 v1, s2
	s_add_co_i32 s7, s7, 1
	s_getreg_b32 s12, hwreg(HW_REG_IB_STS2, 6, 4)
	s_mul_i32 s7, ttmp9, s7
	s_delay_alu instid0(SALU_CYCLE_1) | instskip(SKIP_1) | instid1(TRANS32_DEP_1)
	s_add_co_i32 s6, s6, s7
	v_nop
	v_readfirstlane_b32 s2, v1
	s_mul_f32 s2, s2, 0x4f7ffffe
	s_delay_alu instid0(SALU_CYCLE_3) | instskip(NEXT) | instid1(SALU_CYCLE_3)
	s_cvt_u32_f32 s2, s2
	s_mul_i32 s3, s3, s2
	s_delay_alu instid0(SALU_CYCLE_1) | instskip(NEXT) | instid1(SALU_CYCLE_1)
	s_mul_hi_u32 s3, s2, s3
	s_add_co_i32 s2, s2, s3
	s_cmp_eq_u32 s12, 0
	s_load_b32 s3, s[0:1], 0x4c
	s_cselect_b32 s7, ttmp9, s6
	s_delay_alu instid0(SALU_CYCLE_1) | instskip(NEXT) | instid1(SALU_CYCLE_1)
	s_mul_hi_u32 s2, s7, s2
	s_mul_i32 s6, s2, s15
	s_add_co_i32 s12, s2, 1
	s_sub_co_i32 s6, s7, s6
	s_delay_alu instid0(SALU_CYCLE_1)
	s_sub_co_i32 s16, s6, s15
	s_cmp_ge_u32 s6, s15
	s_cselect_b32 s2, s12, s2
	s_cselect_b32 s6, s16, s6
	s_add_co_i32 s12, s2, 1
	s_cmp_ge_u32 s6, s15
	s_cselect_b32 s2, s12, s2
	s_delay_alu instid0(SALU_CYCLE_1) | instskip(SKIP_3) | instid1(SALU_CYCLE_1)
	s_mul_i32 s12, s2, s15
	s_wait_kmcnt 0x0
	s_and_b32 s6, s3, 0xffff
	s_sub_co_i32 s3, s7, s12
	v_mad_u32 v0, s3, s6, v0
	s_mov_b32 s3, exec_lo
	s_delay_alu instid0(VALU_DEP_1)
	v_cmpx_gt_i32_e64 s14, v0
	s_cbranch_execz .LBB22_19
; %bb.3:
	s_mul_i32 s16, s2, s14
	s_load_b64 s[2:3], s[0:1], 0x38
	s_wait_xcnt 0x0
	s_mul_i32 s0, s16, s13
	s_ashr_i32 s7, s13, 31
	s_ashr_i32 s1, s0, 31
	;; [unrolled: 1-line block ×3, first 2 shown]
	s_lshl_b64 s[18:19], s[0:1], 1
	s_ashr_i32 s1, s14, 31
	s_cmp_lg_u64 s[10:11], 0
	v_ashrrev_i32_e32 v1, 31, v0
	s_cselect_b32 s12, -1, 0
	s_lshl_b64 s[20:21], s[16:17], 3
	s_mul_i32 s16, s15, s6
	s_add_nc_u64 s[8:9], s[8:9], s[20:21]
	s_wait_loadcnt 0x0
	v_xor_b32_e32 v9, 0x8000, v8
	v_lshl_add_u64 v[2:3], v[0:1], 3, s[8:9]
	s_ashr_i32 s17, s16, 31
	s_add_nc_u64 s[4:5], s[4:5], s[18:19]
	s_mov_b32 s6, s13
	s_lshl_b64 s[8:9], s[16:17], 3
	s_mov_b32 s15, 0
                                        ; implicit-def: $sgpr18
                                        ; implicit-def: $sgpr13
                                        ; implicit-def: $sgpr19
                                        ; implicit-def: $sgpr20
	s_branch .LBB22_5
.LBB22_4:                               ;   in Loop: Header=BB22_5 Depth=1
	s_or_b32 exec_lo, exec_lo, s22
	s_delay_alu instid0(SALU_CYCLE_1) | instskip(NEXT) | instid1(SALU_CYCLE_1)
	s_and_b32 s0, exec_lo, s21
	s_or_b32 s15, s0, s15
	s_and_not1_b32 s0, s13, exec_lo
	s_and_b32 s13, s20, exec_lo
	s_and_not1_b32 s18, s18, exec_lo
	s_and_b32 s21, s19, exec_lo
	s_or_b32 s13, s0, s13
	s_or_b32 s18, s18, s21
	s_and_not1_b32 exec_lo, exec_lo, s15
	s_cbranch_execz .LBB22_15
.LBB22_5:                               ; =>This Inner Loop Header: Depth=1
	global_load_b64 v[4:5], v[2:3], off
	s_mov_b32 s21, -1
	s_mov_b32 s0, -1
	s_mov_b32 s22, exec_lo
                                        ; implicit-def: $sgpr23
                                        ; implicit-def: $sgpr24
	s_wait_loadcnt 0x0
	s_wait_kmcnt 0x0
	s_wait_xcnt 0x0
	v_cmpx_ne_u64_e64 s[2:3], v[4:5]
	s_cbranch_execz .LBB22_13
; %bb.6:                                ;   in Loop: Header=BB22_5 Depth=1
	v_cmp_lt_i64_e32 vcc_lo, -1, v[4:5]
	v_cmp_gt_i64_e64 s0, s[6:7], v[4:5]
	s_mov_b32 s23, -1
	s_mov_b32 s25, 0
	s_mov_b32 s24, 0
	s_and_b32 s26, vcc_lo, s0
	s_delay_alu instid0(SALU_CYCLE_1)
	s_and_saveexec_b32 s0, s26
	s_cbranch_execz .LBB22_12
; %bb.7:                                ;   in Loop: Header=BB22_5 Depth=1
	v_mad_nc_u64_u32 v[6:7], v4, s14, v[0:1]
	s_mov_b32 s23, exec_lo
	s_delay_alu instid0(VALU_DEP_1) | instskip(NEXT) | instid1(VALU_DEP_1)
	v_mad_u32 v7, v5, s14, v7
	v_mad_u32 v7, v4, s1, v7
	s_delay_alu instid0(VALU_DEP_1)
	v_cmpx_lt_i64_e32 -1, v[6:7]
	s_cbranch_execz .LBB22_11
; %bb.8:                                ;   in Loop: Header=BB22_5 Depth=1
	v_mov_b32_e32 v10, v9
	s_and_not1_b32 vcc_lo, exec_lo, s12
	s_cbranch_vccnz .LBB22_10
; %bb.9:                                ;   in Loop: Header=BB22_5 Depth=1
	v_lshl_add_u64 v[4:5], v[4:5], 1, s[10:11]
	global_load_u16 v4, v[4:5], off
	s_wait_loadcnt 0x0
	v_mul_f16_e64 v10, v4, -v8
.LBB22_10:                              ;   in Loop: Header=BB22_5 Depth=1
	s_wait_xcnt 0x0
	v_lshl_add_u64 v[4:5], v[6:7], 1, s[4:5]
	s_mov_b32 s25, exec_lo
	global_store_b16 v[4:5], v10, off
.LBB22_11:                              ;   in Loop: Header=BB22_5 Depth=1
	s_wait_xcnt 0x0
	s_or_b32 exec_lo, exec_lo, s23
	s_delay_alu instid0(SALU_CYCLE_1)
	s_mov_b32 s24, exec_lo
	s_xor_b32 s23, exec_lo, -1
	s_and_b32 s25, s25, exec_lo
.LBB22_12:                              ;   in Loop: Header=BB22_5 Depth=1
	s_or_b32 exec_lo, exec_lo, s0
	s_delay_alu instid0(SALU_CYCLE_1)
	s_or_not1_b32 s0, s25, exec_lo
.LBB22_13:                              ;   in Loop: Header=BB22_5 Depth=1
	s_or_b32 exec_lo, exec_lo, s22
	s_delay_alu instid0(SALU_CYCLE_1)
	s_and_not1_b32 s20, s20, exec_lo
	s_and_b32 s22, s24, exec_lo
	s_and_not1_b32 s19, s19, exec_lo
	s_and_b32 s23, s23, exec_lo
	s_or_b32 s20, s20, s22
	s_or_b32 s19, s19, s23
	s_and_saveexec_b32 s22, s0
	s_cbranch_execz .LBB22_4
; %bb.14:                               ;   in Loop: Header=BB22_5 Depth=1
	v_add_nc_u64_e32 v[0:1], s[16:17], v[0:1]
	v_add_nc_u64_e32 v[2:3], s[8:9], v[2:3]
	s_and_not1_b32 s20, s20, exec_lo
	s_and_not1_b32 s19, s19, exec_lo
	s_delay_alu instid0(VALU_DEP_2)
	v_cmp_le_i32_e32 vcc_lo, s14, v0
	s_or_not1_b32 s21, vcc_lo, exec_lo
	s_branch .LBB22_4
.LBB22_15:
	s_or_b32 exec_lo, exec_lo, s15
	s_xor_b32 s1, s18, -1
	s_mov_b32 s0, 0
	s_and_saveexec_b32 s2, s1
	s_delay_alu instid0(SALU_CYCLE_1)
	s_xor_b32 s1, exec_lo, s2
	s_cbranch_execnz .LBB22_20
; %bb.16:
	s_and_not1_saveexec_b32 s1, s1
	s_cbranch_execnz .LBB22_22
.LBB22_17:
	s_or_b32 exec_lo, exec_lo, s1
	s_delay_alu instid0(SALU_CYCLE_1)
	s_and_b32 exec_lo, exec_lo, s0
.LBB22_18:
	; divergent unreachable
.LBB22_19:
	s_endpgm
.LBB22_20:
	s_and_saveexec_b32 s2, s13
	s_delay_alu instid0(SALU_CYCLE_1)
	s_xor_b32 s2, exec_lo, s2
	s_cbranch_execnz .LBB22_23
.LBB22_21:
	s_or_b32 exec_lo, exec_lo, s2
	s_delay_alu instid0(SALU_CYCLE_1)
	s_and_b32 s0, s0, exec_lo
	s_and_not1_saveexec_b32 s1, s1
	s_cbranch_execz .LBB22_17
.LBB22_22:
	s_or_b32 s0, s0, exec_lo
	s_trap 2
	s_or_b32 exec_lo, exec_lo, s1
	s_delay_alu instid0(SALU_CYCLE_1)
	s_and_b32 exec_lo, exec_lo, s0
	s_cbranch_execnz .LBB22_18
	s_branch .LBB22_19
.LBB22_23:
	s_mov_b32 s0, exec_lo
	s_trap 2
	s_branch .LBB22_21
	.section	.rodata,"a",@progbits
	.p2align	6, 0x0
	.amdhsa_kernel _ZN2at6native12_GLOBAL__N_126nll_loss2d_backward_kernelIN3c104HalfEEEvPT_PKS5_PKlS8_S8_biiil
		.amdhsa_group_segment_fixed_size 0
		.amdhsa_private_segment_fixed_size 0
		.amdhsa_kernarg_size 320
		.amdhsa_user_sgpr_count 2
		.amdhsa_user_sgpr_dispatch_ptr 0
		.amdhsa_user_sgpr_queue_ptr 0
		.amdhsa_user_sgpr_kernarg_segment_ptr 1
		.amdhsa_user_sgpr_dispatch_id 0
		.amdhsa_user_sgpr_kernarg_preload_length 0
		.amdhsa_user_sgpr_kernarg_preload_offset 0
		.amdhsa_user_sgpr_private_segment_size 0
		.amdhsa_wavefront_size32 1
		.amdhsa_uses_dynamic_stack 0
		.amdhsa_enable_private_segment 0
		.amdhsa_system_sgpr_workgroup_id_x 1
		.amdhsa_system_sgpr_workgroup_id_y 0
		.amdhsa_system_sgpr_workgroup_id_z 0
		.amdhsa_system_sgpr_workgroup_info 0
		.amdhsa_system_vgpr_workitem_id 0
		.amdhsa_next_free_vgpr 11
		.amdhsa_next_free_sgpr 27
		.amdhsa_named_barrier_count 0
		.amdhsa_reserve_vcc 1
		.amdhsa_float_round_mode_32 0
		.amdhsa_float_round_mode_16_64 0
		.amdhsa_float_denorm_mode_32 3
		.amdhsa_float_denorm_mode_16_64 3
		.amdhsa_fp16_overflow 0
		.amdhsa_memory_ordered 1
		.amdhsa_forward_progress 1
		.amdhsa_inst_pref_size 8
		.amdhsa_round_robin_scheduling 0
		.amdhsa_exception_fp_ieee_invalid_op 0
		.amdhsa_exception_fp_denorm_src 0
		.amdhsa_exception_fp_ieee_div_zero 0
		.amdhsa_exception_fp_ieee_overflow 0
		.amdhsa_exception_fp_ieee_underflow 0
		.amdhsa_exception_fp_ieee_inexact 0
		.amdhsa_exception_int_div_zero 0
	.end_amdhsa_kernel
	.section	.text._ZN2at6native12_GLOBAL__N_126nll_loss2d_backward_kernelIN3c104HalfEEEvPT_PKS5_PKlS8_S8_biiil,"axG",@progbits,_ZN2at6native12_GLOBAL__N_126nll_loss2d_backward_kernelIN3c104HalfEEEvPT_PKS5_PKlS8_S8_biiil,comdat
.Lfunc_end22:
	.size	_ZN2at6native12_GLOBAL__N_126nll_loss2d_backward_kernelIN3c104HalfEEEvPT_PKS5_PKlS8_S8_biiil, .Lfunc_end22-_ZN2at6native12_GLOBAL__N_126nll_loss2d_backward_kernelIN3c104HalfEEEvPT_PKS5_PKlS8_S8_biiil
                                        ; -- End function
	.set _ZN2at6native12_GLOBAL__N_126nll_loss2d_backward_kernelIN3c104HalfEEEvPT_PKS5_PKlS8_S8_biiil.num_vgpr, 11
	.set _ZN2at6native12_GLOBAL__N_126nll_loss2d_backward_kernelIN3c104HalfEEEvPT_PKS5_PKlS8_S8_biiil.num_agpr, 0
	.set _ZN2at6native12_GLOBAL__N_126nll_loss2d_backward_kernelIN3c104HalfEEEvPT_PKS5_PKlS8_S8_biiil.numbered_sgpr, 27
	.set _ZN2at6native12_GLOBAL__N_126nll_loss2d_backward_kernelIN3c104HalfEEEvPT_PKS5_PKlS8_S8_biiil.num_named_barrier, 0
	.set _ZN2at6native12_GLOBAL__N_126nll_loss2d_backward_kernelIN3c104HalfEEEvPT_PKS5_PKlS8_S8_biiil.private_seg_size, 0
	.set _ZN2at6native12_GLOBAL__N_126nll_loss2d_backward_kernelIN3c104HalfEEEvPT_PKS5_PKlS8_S8_biiil.uses_vcc, 1
	.set _ZN2at6native12_GLOBAL__N_126nll_loss2d_backward_kernelIN3c104HalfEEEvPT_PKS5_PKlS8_S8_biiil.uses_flat_scratch, 0
	.set _ZN2at6native12_GLOBAL__N_126nll_loss2d_backward_kernelIN3c104HalfEEEvPT_PKS5_PKlS8_S8_biiil.has_dyn_sized_stack, 0
	.set _ZN2at6native12_GLOBAL__N_126nll_loss2d_backward_kernelIN3c104HalfEEEvPT_PKS5_PKlS8_S8_biiil.has_recursion, 0
	.set _ZN2at6native12_GLOBAL__N_126nll_loss2d_backward_kernelIN3c104HalfEEEvPT_PKS5_PKlS8_S8_biiil.has_indirect_call, 0
	.section	.AMDGPU.csdata,"",@progbits
; Kernel info:
; codeLenInByte = 968
; TotalNumSgprs: 29
; NumVgprs: 11
; ScratchSize: 0
; MemoryBound: 0
; FloatMode: 240
; IeeeMode: 1
; LDSByteSize: 0 bytes/workgroup (compile time only)
; SGPRBlocks: 0
; VGPRBlocks: 0
; NumSGPRsForWavesPerEU: 29
; NumVGPRsForWavesPerEU: 11
; NamedBarCnt: 0
; Occupancy: 16
; WaveLimiterHint : 1
; COMPUTE_PGM_RSRC2:SCRATCH_EN: 0
; COMPUTE_PGM_RSRC2:USER_SGPR: 2
; COMPUTE_PGM_RSRC2:TRAP_HANDLER: 0
; COMPUTE_PGM_RSRC2:TGID_X_EN: 1
; COMPUTE_PGM_RSRC2:TGID_Y_EN: 0
; COMPUTE_PGM_RSRC2:TGID_Z_EN: 0
; COMPUTE_PGM_RSRC2:TIDIG_COMP_CNT: 0
	.section	.text._ZN2at6native12_GLOBAL__N_126nll_loss2d_backward_kernelIN3c108BFloat16EEEvPT_PKS5_PKlS8_S8_biiil,"axG",@progbits,_ZN2at6native12_GLOBAL__N_126nll_loss2d_backward_kernelIN3c108BFloat16EEEvPT_PKS5_PKlS8_S8_biiil,comdat
	.globl	_ZN2at6native12_GLOBAL__N_126nll_loss2d_backward_kernelIN3c108BFloat16EEEvPT_PKS5_PKlS8_S8_biiil ; -- Begin function _ZN2at6native12_GLOBAL__N_126nll_loss2d_backward_kernelIN3c108BFloat16EEEvPT_PKS5_PKlS8_S8_biiil
	.p2align	8
	.type	_ZN2at6native12_GLOBAL__N_126nll_loss2d_backward_kernelIN3c108BFloat16EEEvPT_PKS5_PKlS8_S8_biiil,@function
_ZN2at6native12_GLOBAL__N_126nll_loss2d_backward_kernelIN3c108BFloat16EEEvPT_PKS5_PKlS8_S8_biiil: ; @_ZN2at6native12_GLOBAL__N_126nll_loss2d_backward_kernelIN3c108BFloat16EEEvPT_PKS5_PKlS8_S8_biiil
; %bb.0:
	s_load_b256 s[4:11], s[0:1], 0x0
	v_mov_b32_e32 v1, 0
	s_wait_kmcnt 0x0
	global_load_u16 v1, v1, s[6:7]
	s_clause 0x1
	s_load_b128 s[12:15], s[0:1], 0x28
	s_load_b64 s[2:3], s[0:1], 0x20
	s_wait_kmcnt 0x0
	s_bitcmp0_b32 s12, 0
	s_wait_loadcnt 0x0
	v_readfirstlane_b32 s6, v1
	s_cbranch_scc1 .LBB23_2
; %bb.1:
	s_load_u16 s2, s[2:3], 0x0
	s_wait_xcnt 0x0
	s_lshl_b32 s3, s6, 16
	s_wait_kmcnt 0x0
	s_lshl_b32 s2, s2, 16
	s_delay_alu instid0(SALU_CYCLE_1) | instskip(NEXT) | instid1(VALU_DEP_1)
	v_div_scale_f32 v1, null, s2, s2, s3
	v_rcp_f32_e32 v2, v1
	v_nop
	v_xor_b32_e32 v1, 0x80000000, v1
	s_delay_alu instid0(TRANS32_DEP_1) | instid1(VALU_DEP_1)
	v_fma_f32 v3, v1, v2, 1.0
	s_delay_alu instid0(VALU_DEP_1) | instskip(SKIP_1) | instid1(VALU_DEP_1)
	v_fmac_f32_e32 v2, v3, v2
	v_div_scale_f32 v3, vcc_lo, s3, s2, s3
	v_mul_f32_e32 v4, v3, v2
	s_delay_alu instid0(VALU_DEP_1) | instskip(NEXT) | instid1(VALU_DEP_1)
	v_fma_f32 v5, v1, v4, v3
	v_fmac_f32_e32 v4, v5, v2
	s_delay_alu instid0(VALU_DEP_1) | instskip(NEXT) | instid1(VALU_DEP_1)
	v_fmac_f32_e32 v3, v1, v4
	v_div_fmas_f32 v1, v3, v2, v4
	s_delay_alu instid0(VALU_DEP_1) | instskip(NEXT) | instid1(VALU_DEP_1)
	v_div_fixup_f32 v1, v1, s2, s3
	v_readfirstlane_b32 s2, v1
	s_bfe_u32 s3, s2, 0x10010
	s_delay_alu instid0(SALU_CYCLE_1) | instskip(NEXT) | instid1(SALU_CYCLE_1)
	s_add_co_i32 s3, s2, s3
	s_addk_co_i32 s3, 0x7fff
	s_delay_alu instid0(SALU_CYCLE_1)
	s_lshr_b32 s3, s3, 16
	s_cmp_o_f32 s2, s2
	s_cselect_b32 s6, s3, 0x7fc0
.LBB23_2:
	s_cvt_f32_u32 s2, s15
	s_sub_co_i32 s3, 0, s15
	s_bfe_u32 s12, ttmp6, 0x4000c
	s_and_b32 s7, ttmp6, 15
	v_rcp_iflag_f32_e32 v1, s2
	s_add_co_i32 s12, s12, 1
	s_getreg_b32 s16, hwreg(HW_REG_IB_STS2, 6, 4)
	s_mul_i32 s12, ttmp9, s12
	s_delay_alu instid0(SALU_CYCLE_1) | instskip(SKIP_4) | instid1(SALU_CYCLE_3)
	s_add_co_i32 s7, s7, s12
	s_load_b32 s12, s[0:1], 0x4c
	v_nop
	v_readfirstlane_b32 s2, v1
	s_mul_f32 s2, s2, 0x4f7ffffe
	s_cvt_u32_f32 s2, s2
	s_delay_alu instid0(SALU_CYCLE_3) | instskip(NEXT) | instid1(SALU_CYCLE_1)
	s_mul_i32 s3, s3, s2
	s_mul_hi_u32 s3, s2, s3
	s_delay_alu instid0(SALU_CYCLE_1) | instskip(SKIP_2) | instid1(SALU_CYCLE_1)
	s_add_co_i32 s2, s2, s3
	s_cmp_eq_u32 s16, 0
	s_cselect_b32 s7, ttmp9, s7
	s_mul_hi_u32 s2, s7, s2
	s_delay_alu instid0(SALU_CYCLE_1) | instskip(SKIP_2) | instid1(SALU_CYCLE_1)
	s_mul_i32 s3, s2, s15
	s_add_co_i32 s16, s2, 1
	s_sub_co_i32 s3, s7, s3
	s_sub_co_i32 s17, s3, s15
	s_cmp_ge_u32 s3, s15
	s_cselect_b32 s2, s16, s2
	s_cselect_b32 s3, s17, s3
	s_add_co_i32 s16, s2, 1
	s_cmp_ge_u32 s3, s15
	s_cselect_b32 s3, s16, s2
	s_wait_kmcnt 0x0
	s_and_b32 s2, s12, 0xffff
	s_mul_i32 s16, s3, s15
	s_delay_alu instid0(SALU_CYCLE_1) | instskip(NEXT) | instid1(SALU_CYCLE_1)
	s_sub_co_i32 s7, s7, s16
	v_mad_u32 v0, s7, s2, v0
	s_mov_b32 s7, exec_lo
	s_delay_alu instid0(VALU_DEP_1)
	v_cmpx_gt_i32_e64 s14, v0
	s_cbranch_execz .LBB23_19
; %bb.3:
	s_lshl_b32 s6, s6, 16
	s_mul_i32 s18, s3, s14
	s_xor_b32 s7, s6, 0x80000000
	s_mul_i32 s20, s18, s13
	s_bfe_u32 s12, s7, 0x10010
	v_ashrrev_i32_e32 v1, 31, v0
	s_add_co_i32 s7, s7, s12
	s_mul_i32 s2, s15, s2
	s_addk_co_i32 s7, 0x7fff
	s_mov_b32 s16, s13
	s_lshr_b32 s12, s7, 16
	s_cmp_o_f32 s6, s6
	s_load_b64 s[6:7], s[0:1], 0x38
                                        ; implicit-def: $sgpr22
	s_wait_xcnt 0x0
	s_cselect_b32 s1, s12, 0x7fc0
	s_ashr_i32 s21, s20, 31
	s_ashr_i32 s19, s18, 31
	;; [unrolled: 1-line block ×4, first 2 shown]
	s_lshl_b64 s[20:21], s[20:21], 1
	s_cmp_lg_u64 s[10:11], 0
	s_add_nc_u64 s[4:5], s[4:5], s[20:21]
	s_cselect_b32 s15, -1, 0
	s_lshl_b64 s[18:19], s[18:19], 3
	s_ashr_i32 s3, s2, 31
	s_add_nc_u64 s[8:9], s[8:9], s[18:19]
	s_lshl_b32 s18, s1, 16
	v_lshl_add_u64 v[2:3], v[0:1], 3, s[8:9]
	s_lshl_b64 s[8:9], s[2:3], 3
	s_mov_b32 s19, 0
                                        ; implicit-def: $sgpr20
                                        ; implicit-def: $sgpr13
                                        ; implicit-def: $sgpr21
	s_branch .LBB23_5
.LBB23_4:                               ;   in Loop: Header=BB23_5 Depth=1
	s_or_b32 exec_lo, exec_lo, s24
	s_delay_alu instid0(SALU_CYCLE_1) | instskip(NEXT) | instid1(SALU_CYCLE_1)
	s_and_b32 s0, exec_lo, s23
	s_or_b32 s19, s0, s19
	s_and_not1_b32 s0, s13, exec_lo
	s_and_b32 s13, s22, exec_lo
	s_and_not1_b32 s20, s20, exec_lo
	s_and_b32 s23, s21, exec_lo
	s_or_b32 s13, s0, s13
	s_or_b32 s20, s20, s23
	s_and_not1_b32 exec_lo, exec_lo, s19
	s_cbranch_execz .LBB23_15
.LBB23_5:                               ; =>This Inner Loop Header: Depth=1
	global_load_b64 v[4:5], v[2:3], off
	s_mov_b32 s23, -1
	s_mov_b32 s0, -1
	s_mov_b32 s24, exec_lo
                                        ; implicit-def: $sgpr25
                                        ; implicit-def: $sgpr26
	s_wait_loadcnt 0x0
	s_wait_kmcnt 0x0
	s_wait_xcnt 0x0
	v_cmpx_ne_u64_e64 s[6:7], v[4:5]
	s_cbranch_execz .LBB23_13
; %bb.6:                                ;   in Loop: Header=BB23_5 Depth=1
	v_cmp_lt_i64_e32 vcc_lo, -1, v[4:5]
	v_cmp_gt_i64_e64 s0, s[16:17], v[4:5]
	s_mov_b32 s25, -1
	s_mov_b32 s27, 0
	s_mov_b32 s26, 0
	s_and_b32 s28, vcc_lo, s0
	s_delay_alu instid0(SALU_CYCLE_1)
	s_and_saveexec_b32 s0, s28
	s_cbranch_execz .LBB23_12
; %bb.7:                                ;   in Loop: Header=BB23_5 Depth=1
	v_mad_nc_u64_u32 v[6:7], v4, s14, v[0:1]
	s_mov_b32 s25, exec_lo
	s_delay_alu instid0(VALU_DEP_1) | instskip(NEXT) | instid1(VALU_DEP_1)
	v_mad_u32 v7, v5, s14, v7
	v_mad_u32 v7, v4, s12, v7
	s_delay_alu instid0(VALU_DEP_1)
	v_cmpx_lt_i64_e32 -1, v[6:7]
	s_cbranch_execz .LBB23_11
; %bb.8:                                ;   in Loop: Header=BB23_5 Depth=1
	v_mov_b32_e32 v8, s1
	s_and_not1_b32 vcc_lo, exec_lo, s15
	s_cbranch_vccnz .LBB23_10
; %bb.9:                                ;   in Loop: Header=BB23_5 Depth=1
	v_lshl_add_u64 v[4:5], v[4:5], 1, s[10:11]
	global_load_u16 v4, v[4:5], off
	s_wait_loadcnt 0x0
	s_wait_xcnt 0x0
	v_lshlrev_b32_e32 v4, 16, v4
	s_delay_alu instid0(VALU_DEP_1) | instskip(NEXT) | instid1(VALU_DEP_1)
	v_mul_f32_e32 v4, s18, v4
	v_bfe_u32 v5, v4, 16, 1
	v_cmp_o_f32_e32 vcc_lo, v4, v4
	s_delay_alu instid0(VALU_DEP_2) | instskip(NEXT) | instid1(VALU_DEP_1)
	v_add3_u32 v5, v4, v5, 0x7fff
	v_lshrrev_b32_e32 v5, 16, v5
	s_delay_alu instid0(VALU_DEP_1)
	v_cndmask_b32_e32 v8, 0x7fc0, v5, vcc_lo
.LBB23_10:                              ;   in Loop: Header=BB23_5 Depth=1
	v_lshl_add_u64 v[4:5], v[6:7], 1, s[4:5]
	s_mov_b32 s27, exec_lo
	global_store_b16 v[4:5], v8, off
.LBB23_11:                              ;   in Loop: Header=BB23_5 Depth=1
	s_wait_xcnt 0x0
	s_or_b32 exec_lo, exec_lo, s25
	s_delay_alu instid0(SALU_CYCLE_1)
	s_mov_b32 s26, exec_lo
	s_xor_b32 s25, exec_lo, -1
	s_and_b32 s27, s27, exec_lo
.LBB23_12:                              ;   in Loop: Header=BB23_5 Depth=1
	s_or_b32 exec_lo, exec_lo, s0
	s_delay_alu instid0(SALU_CYCLE_1)
	s_or_not1_b32 s0, s27, exec_lo
.LBB23_13:                              ;   in Loop: Header=BB23_5 Depth=1
	s_or_b32 exec_lo, exec_lo, s24
	s_delay_alu instid0(SALU_CYCLE_1)
	s_and_not1_b32 s22, s22, exec_lo
	s_and_b32 s24, s26, exec_lo
	s_and_not1_b32 s21, s21, exec_lo
	s_and_b32 s25, s25, exec_lo
	s_or_b32 s22, s22, s24
	s_or_b32 s21, s21, s25
	s_and_saveexec_b32 s24, s0
	s_cbranch_execz .LBB23_4
; %bb.14:                               ;   in Loop: Header=BB23_5 Depth=1
	v_add_nc_u64_e32 v[0:1], s[2:3], v[0:1]
	v_add_nc_u64_e32 v[2:3], s[8:9], v[2:3]
	s_and_not1_b32 s22, s22, exec_lo
	s_and_not1_b32 s21, s21, exec_lo
	s_delay_alu instid0(VALU_DEP_2)
	v_cmp_le_i32_e32 vcc_lo, s14, v0
	s_or_not1_b32 s23, vcc_lo, exec_lo
	s_branch .LBB23_4
.LBB23_15:
	s_or_b32 exec_lo, exec_lo, s19
	s_xor_b32 s1, s20, -1
	s_mov_b32 s0, 0
	s_and_saveexec_b32 s2, s1
	s_delay_alu instid0(SALU_CYCLE_1)
	s_xor_b32 s1, exec_lo, s2
	s_cbranch_execnz .LBB23_20
; %bb.16:
	s_and_not1_saveexec_b32 s1, s1
	s_cbranch_execnz .LBB23_22
.LBB23_17:
	s_or_b32 exec_lo, exec_lo, s1
	s_delay_alu instid0(SALU_CYCLE_1)
	s_and_b32 exec_lo, exec_lo, s0
.LBB23_18:
	; divergent unreachable
.LBB23_19:
	s_endpgm
.LBB23_20:
	s_and_saveexec_b32 s2, s13
	s_delay_alu instid0(SALU_CYCLE_1)
	s_xor_b32 s2, exec_lo, s2
	s_cbranch_execnz .LBB23_23
.LBB23_21:
	s_or_b32 exec_lo, exec_lo, s2
	s_delay_alu instid0(SALU_CYCLE_1)
	s_and_b32 s0, s0, exec_lo
	s_and_not1_saveexec_b32 s1, s1
	s_cbranch_execz .LBB23_17
.LBB23_22:
	s_or_b32 s0, s0, exec_lo
	s_trap 2
	s_or_b32 exec_lo, exec_lo, s1
	s_delay_alu instid0(SALU_CYCLE_1)
	s_and_b32 exec_lo, exec_lo, s0
	s_cbranch_execnz .LBB23_18
	s_branch .LBB23_19
.LBB23_23:
	s_mov_b32 s0, exec_lo
	s_trap 2
	s_branch .LBB23_21
	.section	.rodata,"a",@progbits
	.p2align	6, 0x0
	.amdhsa_kernel _ZN2at6native12_GLOBAL__N_126nll_loss2d_backward_kernelIN3c108BFloat16EEEvPT_PKS5_PKlS8_S8_biiil
		.amdhsa_group_segment_fixed_size 0
		.amdhsa_private_segment_fixed_size 0
		.amdhsa_kernarg_size 320
		.amdhsa_user_sgpr_count 2
		.amdhsa_user_sgpr_dispatch_ptr 0
		.amdhsa_user_sgpr_queue_ptr 0
		.amdhsa_user_sgpr_kernarg_segment_ptr 1
		.amdhsa_user_sgpr_dispatch_id 0
		.amdhsa_user_sgpr_kernarg_preload_length 0
		.amdhsa_user_sgpr_kernarg_preload_offset 0
		.amdhsa_user_sgpr_private_segment_size 0
		.amdhsa_wavefront_size32 1
		.amdhsa_uses_dynamic_stack 0
		.amdhsa_enable_private_segment 0
		.amdhsa_system_sgpr_workgroup_id_x 1
		.amdhsa_system_sgpr_workgroup_id_y 0
		.amdhsa_system_sgpr_workgroup_id_z 0
		.amdhsa_system_sgpr_workgroup_info 0
		.amdhsa_system_vgpr_workitem_id 0
		.amdhsa_next_free_vgpr 9
		.amdhsa_next_free_sgpr 29
		.amdhsa_named_barrier_count 0
		.amdhsa_reserve_vcc 1
		.amdhsa_float_round_mode_32 0
		.amdhsa_float_round_mode_16_64 0
		.amdhsa_float_denorm_mode_32 3
		.amdhsa_float_denorm_mode_16_64 3
		.amdhsa_fp16_overflow 0
		.amdhsa_memory_ordered 1
		.amdhsa_forward_progress 1
		.amdhsa_inst_pref_size 9
		.amdhsa_round_robin_scheduling 0
		.amdhsa_exception_fp_ieee_invalid_op 0
		.amdhsa_exception_fp_denorm_src 0
		.amdhsa_exception_fp_ieee_div_zero 0
		.amdhsa_exception_fp_ieee_overflow 0
		.amdhsa_exception_fp_ieee_underflow 0
		.amdhsa_exception_fp_ieee_inexact 0
		.amdhsa_exception_int_div_zero 0
	.end_amdhsa_kernel
	.section	.text._ZN2at6native12_GLOBAL__N_126nll_loss2d_backward_kernelIN3c108BFloat16EEEvPT_PKS5_PKlS8_S8_biiil,"axG",@progbits,_ZN2at6native12_GLOBAL__N_126nll_loss2d_backward_kernelIN3c108BFloat16EEEvPT_PKS5_PKlS8_S8_biiil,comdat
.Lfunc_end23:
	.size	_ZN2at6native12_GLOBAL__N_126nll_loss2d_backward_kernelIN3c108BFloat16EEEvPT_PKS5_PKlS8_S8_biiil, .Lfunc_end23-_ZN2at6native12_GLOBAL__N_126nll_loss2d_backward_kernelIN3c108BFloat16EEEvPT_PKS5_PKlS8_S8_biiil
                                        ; -- End function
	.set _ZN2at6native12_GLOBAL__N_126nll_loss2d_backward_kernelIN3c108BFloat16EEEvPT_PKS5_PKlS8_S8_biiil.num_vgpr, 9
	.set _ZN2at6native12_GLOBAL__N_126nll_loss2d_backward_kernelIN3c108BFloat16EEEvPT_PKS5_PKlS8_S8_biiil.num_agpr, 0
	.set _ZN2at6native12_GLOBAL__N_126nll_loss2d_backward_kernelIN3c108BFloat16EEEvPT_PKS5_PKlS8_S8_biiil.numbered_sgpr, 29
	.set _ZN2at6native12_GLOBAL__N_126nll_loss2d_backward_kernelIN3c108BFloat16EEEvPT_PKS5_PKlS8_S8_biiil.num_named_barrier, 0
	.set _ZN2at6native12_GLOBAL__N_126nll_loss2d_backward_kernelIN3c108BFloat16EEEvPT_PKS5_PKlS8_S8_biiil.private_seg_size, 0
	.set _ZN2at6native12_GLOBAL__N_126nll_loss2d_backward_kernelIN3c108BFloat16EEEvPT_PKS5_PKlS8_S8_biiil.uses_vcc, 1
	.set _ZN2at6native12_GLOBAL__N_126nll_loss2d_backward_kernelIN3c108BFloat16EEEvPT_PKS5_PKlS8_S8_biiil.uses_flat_scratch, 0
	.set _ZN2at6native12_GLOBAL__N_126nll_loss2d_backward_kernelIN3c108BFloat16EEEvPT_PKS5_PKlS8_S8_biiil.has_dyn_sized_stack, 0
	.set _ZN2at6native12_GLOBAL__N_126nll_loss2d_backward_kernelIN3c108BFloat16EEEvPT_PKS5_PKlS8_S8_biiil.has_recursion, 0
	.set _ZN2at6native12_GLOBAL__N_126nll_loss2d_backward_kernelIN3c108BFloat16EEEvPT_PKS5_PKlS8_S8_biiil.has_indirect_call, 0
	.section	.AMDGPU.csdata,"",@progbits
; Kernel info:
; codeLenInByte = 1120
; TotalNumSgprs: 31
; NumVgprs: 9
; ScratchSize: 0
; MemoryBound: 0
; FloatMode: 240
; IeeeMode: 1
; LDSByteSize: 0 bytes/workgroup (compile time only)
; SGPRBlocks: 0
; VGPRBlocks: 0
; NumSGPRsForWavesPerEU: 31
; NumVGPRsForWavesPerEU: 9
; NamedBarCnt: 0
; Occupancy: 16
; WaveLimiterHint : 1
; COMPUTE_PGM_RSRC2:SCRATCH_EN: 0
; COMPUTE_PGM_RSRC2:USER_SGPR: 2
; COMPUTE_PGM_RSRC2:TRAP_HANDLER: 0
; COMPUTE_PGM_RSRC2:TGID_X_EN: 1
; COMPUTE_PGM_RSRC2:TGID_Y_EN: 0
; COMPUTE_PGM_RSRC2:TGID_Z_EN: 0
; COMPUTE_PGM_RSRC2:TIDIG_COMP_CNT: 0
	.section	.AMDGPU.gpr_maximums,"",@progbits
	.set amdgpu.max_num_vgpr, 0
	.set amdgpu.max_num_agpr, 0
	.set amdgpu.max_num_sgpr, 0
	.section	.AMDGPU.csdata,"",@progbits
	.type	__hip_cuid_a47fe2c2d3fa4f9f,@object ; @__hip_cuid_a47fe2c2d3fa4f9f
	.section	.bss,"aw",@nobits
	.globl	__hip_cuid_a47fe2c2d3fa4f9f
__hip_cuid_a47fe2c2d3fa4f9f:
	.byte	0                               ; 0x0
	.size	__hip_cuid_a47fe2c2d3fa4f9f, 1

	.ident	"AMD clang version 22.0.0git (https://github.com/RadeonOpenCompute/llvm-project roc-7.2.4 26084 f58b06dce1f9c15707c5f808fd002e18c2accf7e)"
	.section	".note.GNU-stack","",@progbits
	.addrsig
	.addrsig_sym __hip_cuid_a47fe2c2d3fa4f9f
	.amdgpu_metadata
---
amdhsa.kernels:
  - .args:
      - .offset:         0
        .size:           8
        .value_kind:     by_value
      - .offset:         8
        .size:           72
        .value_kind:     by_value
      - .offset:         80
        .size:           56
        .value_kind:     by_value
      - .offset:         136
        .size:           56
        .value_kind:     by_value
      - .address_space:  global
        .offset:         192
        .size:           8
        .value_kind:     global_buffer
      - .offset:         200
        .size:           8
        .value_kind:     by_value
      - .offset:         208
        .size:           4
        .value_kind:     hidden_block_count_x
      - .offset:         212
        .size:           4
        .value_kind:     hidden_block_count_y
      - .offset:         216
        .size:           4
        .value_kind:     hidden_block_count_z
      - .offset:         220
        .size:           2
        .value_kind:     hidden_group_size_x
      - .offset:         222
        .size:           2
        .value_kind:     hidden_group_size_y
      - .offset:         224
        .size:           2
        .value_kind:     hidden_group_size_z
      - .offset:         226
        .size:           2
        .value_kind:     hidden_remainder_x
      - .offset:         228
        .size:           2
        .value_kind:     hidden_remainder_y
      - .offset:         230
        .size:           2
        .value_kind:     hidden_remainder_z
      - .offset:         248
        .size:           8
        .value_kind:     hidden_global_offset_x
      - .offset:         256
        .size:           8
        .value_kind:     hidden_global_offset_y
      - .offset:         264
        .size:           8
        .value_kind:     hidden_global_offset_z
      - .offset:         272
        .size:           2
        .value_kind:     hidden_grid_dims
    .group_segment_fixed_size: 0
    .kernarg_segment_align: 8
    .kernarg_segment_size: 464
    .language:       OpenCL C
    .language_version:
      - 2
      - 0
    .max_flat_workgroup_size: 1024
    .name:           _ZN2at6native12_GLOBAL__N_135nll_loss2d_forward_no_reduce_kernelIdEEvlN5torch10headeronly6detail27GenericPackedTensorAccessorINS5_14TensorAccessorIN3c108ArrayRefIlEET_Lm3ENS4_16DefaultPtrTraitsElEENS_6detail16IndexBoundsCheckILm4ElEESB_Lm4ESC_lEENS6_INS7_ISA_lLm2ESC_lEENSF_ILm3ElEElLm3ESC_lEENS6_INS7_ISA_SB_Lm2ESC_lEESJ_SB_Lm3ESC_lEEPKSB_l
    .private_segment_fixed_size: 0
    .sgpr_count:     73
    .sgpr_spill_count: 0
    .symbol:         _ZN2at6native12_GLOBAL__N_135nll_loss2d_forward_no_reduce_kernelIdEEvlN5torch10headeronly6detail27GenericPackedTensorAccessorINS5_14TensorAccessorIN3c108ArrayRefIlEET_Lm3ENS4_16DefaultPtrTraitsElEENS_6detail16IndexBoundsCheckILm4ElEESB_Lm4ESC_lEENS6_INS7_ISA_lLm2ESC_lEENSF_ILm3ElEElLm3ESC_lEENS6_INS7_ISA_SB_Lm2ESC_lEESJ_SB_Lm3ESC_lEEPKSB_l.kd
    .uniform_work_group_size: 1
    .uses_dynamic_stack: false
    .vgpr_count:     28
    .vgpr_spill_count: 0
    .wavefront_size: 32
  - .args:
      - .offset:         0
        .size:           8
        .value_kind:     by_value
      - .offset:         8
        .size:           72
        .value_kind:     by_value
      - .offset:         80
        .size:           56
        .value_kind:     by_value
      - .offset:         136
        .size:           56
        .value_kind:     by_value
      - .address_space:  global
        .offset:         192
        .size:           8
        .value_kind:     global_buffer
      - .offset:         200
        .size:           8
        .value_kind:     by_value
      - .offset:         208
        .size:           4
        .value_kind:     hidden_block_count_x
      - .offset:         212
        .size:           4
        .value_kind:     hidden_block_count_y
      - .offset:         216
        .size:           4
        .value_kind:     hidden_block_count_z
      - .offset:         220
        .size:           2
        .value_kind:     hidden_group_size_x
      - .offset:         222
        .size:           2
        .value_kind:     hidden_group_size_y
      - .offset:         224
        .size:           2
        .value_kind:     hidden_group_size_z
      - .offset:         226
        .size:           2
        .value_kind:     hidden_remainder_x
      - .offset:         228
        .size:           2
        .value_kind:     hidden_remainder_y
      - .offset:         230
        .size:           2
        .value_kind:     hidden_remainder_z
      - .offset:         248
        .size:           8
        .value_kind:     hidden_global_offset_x
      - .offset:         256
        .size:           8
        .value_kind:     hidden_global_offset_y
      - .offset:         264
        .size:           8
        .value_kind:     hidden_global_offset_z
      - .offset:         272
        .size:           2
        .value_kind:     hidden_grid_dims
    .group_segment_fixed_size: 0
    .kernarg_segment_align: 8
    .kernarg_segment_size: 464
    .language:       OpenCL C
    .language_version:
      - 2
      - 0
    .max_flat_workgroup_size: 1024
    .name:           _ZN2at6native12_GLOBAL__N_135nll_loss2d_forward_no_reduce_kernelIfEEvlN5torch10headeronly6detail27GenericPackedTensorAccessorINS5_14TensorAccessorIN3c108ArrayRefIlEET_Lm3ENS4_16DefaultPtrTraitsElEENS_6detail16IndexBoundsCheckILm4ElEESB_Lm4ESC_lEENS6_INS7_ISA_lLm2ESC_lEENSF_ILm3ElEElLm3ESC_lEENS6_INS7_ISA_SB_Lm2ESC_lEESJ_SB_Lm3ESC_lEEPKSB_l
    .private_segment_fixed_size: 0
    .sgpr_count:     73
    .sgpr_spill_count: 0
    .symbol:         _ZN2at6native12_GLOBAL__N_135nll_loss2d_forward_no_reduce_kernelIfEEvlN5torch10headeronly6detail27GenericPackedTensorAccessorINS5_14TensorAccessorIN3c108ArrayRefIlEET_Lm3ENS4_16DefaultPtrTraitsElEENS_6detail16IndexBoundsCheckILm4ElEESB_Lm4ESC_lEENS6_INS7_ISA_lLm2ESC_lEENSF_ILm3ElEElLm3ESC_lEENS6_INS7_ISA_SB_Lm2ESC_lEESJ_SB_Lm3ESC_lEEPKSB_l.kd
    .uniform_work_group_size: 1
    .uses_dynamic_stack: false
    .vgpr_count:     28
    .vgpr_spill_count: 0
    .wavefront_size: 32
  - .args:
      - .offset:         0
        .size:           8
        .value_kind:     by_value
      - .offset:         8
        .size:           72
        .value_kind:     by_value
      - .offset:         80
        .size:           56
        .value_kind:     by_value
      - .offset:         136
        .size:           56
        .value_kind:     by_value
      - .address_space:  global
        .offset:         192
        .size:           8
        .value_kind:     global_buffer
      - .offset:         200
        .size:           8
        .value_kind:     by_value
      - .offset:         208
        .size:           4
        .value_kind:     hidden_block_count_x
      - .offset:         212
        .size:           4
        .value_kind:     hidden_block_count_y
      - .offset:         216
        .size:           4
        .value_kind:     hidden_block_count_z
      - .offset:         220
        .size:           2
        .value_kind:     hidden_group_size_x
      - .offset:         222
        .size:           2
        .value_kind:     hidden_group_size_y
      - .offset:         224
        .size:           2
        .value_kind:     hidden_group_size_z
      - .offset:         226
        .size:           2
        .value_kind:     hidden_remainder_x
      - .offset:         228
        .size:           2
        .value_kind:     hidden_remainder_y
      - .offset:         230
        .size:           2
        .value_kind:     hidden_remainder_z
      - .offset:         248
        .size:           8
        .value_kind:     hidden_global_offset_x
      - .offset:         256
        .size:           8
        .value_kind:     hidden_global_offset_y
      - .offset:         264
        .size:           8
        .value_kind:     hidden_global_offset_z
      - .offset:         272
        .size:           2
        .value_kind:     hidden_grid_dims
    .group_segment_fixed_size: 0
    .kernarg_segment_align: 8
    .kernarg_segment_size: 464
    .language:       OpenCL C
    .language_version:
      - 2
      - 0
    .max_flat_workgroup_size: 1024
    .name:           _ZN2at6native12_GLOBAL__N_135nll_loss2d_forward_no_reduce_kernelIN3c104HalfEEEvlN5torch10headeronly6detail27GenericPackedTensorAccessorINS7_14TensorAccessorINS3_8ArrayRefIlEET_Lm3ENS6_16DefaultPtrTraitsElEENS_6detail16IndexBoundsCheckILm4ElEESC_Lm4ESD_lEENS8_INS9_ISB_lLm2ESD_lEENSG_ILm3ElEElLm3ESD_lEENS8_INS9_ISB_SC_Lm2ESD_lEESK_SC_Lm3ESD_lEEPKSC_l
    .private_segment_fixed_size: 0
    .sgpr_count:     73
    .sgpr_spill_count: 0
    .symbol:         _ZN2at6native12_GLOBAL__N_135nll_loss2d_forward_no_reduce_kernelIN3c104HalfEEEvlN5torch10headeronly6detail27GenericPackedTensorAccessorINS7_14TensorAccessorINS3_8ArrayRefIlEET_Lm3ENS6_16DefaultPtrTraitsElEENS_6detail16IndexBoundsCheckILm4ElEESC_Lm4ESD_lEENS8_INS9_ISB_lLm2ESD_lEENSG_ILm3ElEElLm3ESD_lEENS8_INS9_ISB_SC_Lm2ESD_lEESK_SC_Lm3ESD_lEEPKSC_l.kd
    .uniform_work_group_size: 1
    .uses_dynamic_stack: false
    .vgpr_count:     28
    .vgpr_spill_count: 0
    .wavefront_size: 32
  - .args:
      - .offset:         0
        .size:           8
        .value_kind:     by_value
      - .offset:         8
        .size:           72
        .value_kind:     by_value
      - .offset:         80
        .size:           56
        .value_kind:     by_value
      - .offset:         136
        .size:           56
        .value_kind:     by_value
      - .address_space:  global
        .offset:         192
        .size:           8
        .value_kind:     global_buffer
      - .offset:         200
        .size:           8
        .value_kind:     by_value
      - .offset:         208
        .size:           4
        .value_kind:     hidden_block_count_x
      - .offset:         212
        .size:           4
        .value_kind:     hidden_block_count_y
      - .offset:         216
        .size:           4
        .value_kind:     hidden_block_count_z
      - .offset:         220
        .size:           2
        .value_kind:     hidden_group_size_x
      - .offset:         222
        .size:           2
        .value_kind:     hidden_group_size_y
      - .offset:         224
        .size:           2
        .value_kind:     hidden_group_size_z
      - .offset:         226
        .size:           2
        .value_kind:     hidden_remainder_x
      - .offset:         228
        .size:           2
        .value_kind:     hidden_remainder_y
      - .offset:         230
        .size:           2
        .value_kind:     hidden_remainder_z
      - .offset:         248
        .size:           8
        .value_kind:     hidden_global_offset_x
      - .offset:         256
        .size:           8
        .value_kind:     hidden_global_offset_y
      - .offset:         264
        .size:           8
        .value_kind:     hidden_global_offset_z
      - .offset:         272
        .size:           2
        .value_kind:     hidden_grid_dims
    .group_segment_fixed_size: 0
    .kernarg_segment_align: 8
    .kernarg_segment_size: 464
    .language:       OpenCL C
    .language_version:
      - 2
      - 0
    .max_flat_workgroup_size: 1024
    .name:           _ZN2at6native12_GLOBAL__N_135nll_loss2d_forward_no_reduce_kernelIN3c108BFloat16EEEvlN5torch10headeronly6detail27GenericPackedTensorAccessorINS7_14TensorAccessorINS3_8ArrayRefIlEET_Lm3ENS6_16DefaultPtrTraitsElEENS_6detail16IndexBoundsCheckILm4ElEESC_Lm4ESD_lEENS8_INS9_ISB_lLm2ESD_lEENSG_ILm3ElEElLm3ESD_lEENS8_INS9_ISB_SC_Lm2ESD_lEESK_SC_Lm3ESD_lEEPKSC_l
    .private_segment_fixed_size: 0
    .sgpr_count:     73
    .sgpr_spill_count: 0
    .symbol:         _ZN2at6native12_GLOBAL__N_135nll_loss2d_forward_no_reduce_kernelIN3c108BFloat16EEEvlN5torch10headeronly6detail27GenericPackedTensorAccessorINS7_14TensorAccessorINS3_8ArrayRefIlEET_Lm3ENS6_16DefaultPtrTraitsElEENS_6detail16IndexBoundsCheckILm4ElEESC_Lm4ESD_lEENS8_INS9_ISB_lLm2ESD_lEENSG_ILm3ElEElLm3ESD_lEENS8_INS9_ISB_SC_Lm2ESD_lEESK_SC_Lm3ESD_lEEPKSC_l.kd
    .uniform_work_group_size: 1
    .uses_dynamic_stack: false
    .vgpr_count:     28
    .vgpr_spill_count: 0
    .wavefront_size: 32
  - .args:
      - .address_space:  global
        .offset:         0
        .size:           8
        .value_kind:     global_buffer
      - .address_space:  global
        .offset:         8
        .size:           8
        .value_kind:     global_buffer
      - .address_space:  global
        .offset:         16
        .size:           8
        .value_kind:     global_buffer
      - .address_space:  global
        .offset:         24
        .size:           8
        .value_kind:     global_buffer
      - .address_space:  global
        .offset:         32
        .size:           8
        .value_kind:     global_buffer
      - .offset:         40
        .size:           4
        .value_kind:     by_value
      - .offset:         44
        .size:           4
        .value_kind:     by_value
      - .offset:         48
        .size:           4
        .value_kind:     by_value
      - .offset:         56
        .size:           8
        .value_kind:     by_value
      - .offset:         64
        .size:           4
        .value_kind:     hidden_block_count_x
      - .offset:         68
        .size:           4
        .value_kind:     hidden_block_count_y
      - .offset:         72
        .size:           4
        .value_kind:     hidden_block_count_z
      - .offset:         76
        .size:           2
        .value_kind:     hidden_group_size_x
      - .offset:         78
        .size:           2
        .value_kind:     hidden_group_size_y
      - .offset:         80
        .size:           2
        .value_kind:     hidden_group_size_z
      - .offset:         82
        .size:           2
        .value_kind:     hidden_remainder_x
      - .offset:         84
        .size:           2
        .value_kind:     hidden_remainder_y
      - .offset:         86
        .size:           2
        .value_kind:     hidden_remainder_z
      - .offset:         104
        .size:           8
        .value_kind:     hidden_global_offset_x
      - .offset:         112
        .size:           8
        .value_kind:     hidden_global_offset_y
      - .offset:         120
        .size:           8
        .value_kind:     hidden_global_offset_z
      - .offset:         128
        .size:           2
        .value_kind:     hidden_grid_dims
    .group_segment_fixed_size: 16384
    .kernarg_segment_align: 8
    .kernarg_segment_size: 320
    .language:       OpenCL C
    .language_version:
      - 2
      - 0
    .max_flat_workgroup_size: 1024
    .name:           _ZN2at6native12_GLOBAL__N_125nll_loss2d_forward_kernelIddiEEvPT_S4_PKS3_PKlS6_iiil
    .private_segment_fixed_size: 0
    .sgpr_count:     30
    .sgpr_spill_count: 0
    .symbol:         _ZN2at6native12_GLOBAL__N_125nll_loss2d_forward_kernelIddiEEvPT_S4_PKS3_PKlS6_iiil.kd
    .uniform_work_group_size: 1
    .uses_dynamic_stack: false
    .vgpr_count:     14
    .vgpr_spill_count: 0
    .wavefront_size: 32
  - .args:
      - .address_space:  global
        .offset:         0
        .size:           8
        .value_kind:     global_buffer
      - .address_space:  global
        .offset:         8
        .size:           8
        .value_kind:     global_buffer
    .group_segment_fixed_size: 0
    .kernarg_segment_align: 8
    .kernarg_segment_size: 16
    .language:       OpenCL C
    .language_version:
      - 2
      - 0
    .max_flat_workgroup_size: 1024
    .name:           _ZN2at6native12_GLOBAL__N_138nll_loss2d_forward_size_average_kernelIdEEvPT_PKS3_
    .private_segment_fixed_size: 0
    .sgpr_count:     10
    .sgpr_spill_count: 0
    .symbol:         _ZN2at6native12_GLOBAL__N_138nll_loss2d_forward_size_average_kernelIdEEvPT_PKS3_.kd
    .uniform_work_group_size: 1
    .uses_dynamic_stack: false
    .vgpr_count:     8
    .vgpr_spill_count: 0
    .wavefront_size: 32
  - .args:
      - .address_space:  global
        .offset:         0
        .size:           8
        .value_kind:     global_buffer
      - .address_space:  global
        .offset:         8
        .size:           8
        .value_kind:     global_buffer
      - .address_space:  global
        .offset:         16
        .size:           8
        .value_kind:     global_buffer
      - .address_space:  global
        .offset:         24
        .size:           8
        .value_kind:     global_buffer
      - .address_space:  global
        .offset:         32
        .size:           8
        .value_kind:     global_buffer
      - .offset:         40
        .size:           4
        .value_kind:     by_value
      - .offset:         44
        .size:           4
        .value_kind:     by_value
      - .offset:         48
        .size:           4
        .value_kind:     by_value
      - .offset:         56
        .size:           8
        .value_kind:     by_value
      - .offset:         64
        .size:           4
        .value_kind:     hidden_block_count_x
      - .offset:         68
        .size:           4
        .value_kind:     hidden_block_count_y
      - .offset:         72
        .size:           4
        .value_kind:     hidden_block_count_z
      - .offset:         76
        .size:           2
        .value_kind:     hidden_group_size_x
      - .offset:         78
        .size:           2
        .value_kind:     hidden_group_size_y
      - .offset:         80
        .size:           2
        .value_kind:     hidden_group_size_z
      - .offset:         82
        .size:           2
        .value_kind:     hidden_remainder_x
      - .offset:         84
        .size:           2
        .value_kind:     hidden_remainder_y
      - .offset:         86
        .size:           2
        .value_kind:     hidden_remainder_z
      - .offset:         104
        .size:           8
        .value_kind:     hidden_global_offset_x
      - .offset:         112
        .size:           8
        .value_kind:     hidden_global_offset_y
      - .offset:         120
        .size:           8
        .value_kind:     hidden_global_offset_z
      - .offset:         128
        .size:           2
        .value_kind:     hidden_grid_dims
    .group_segment_fixed_size: 16384
    .kernarg_segment_align: 8
    .kernarg_segment_size: 320
    .language:       OpenCL C
    .language_version:
      - 2
      - 0
    .max_flat_workgroup_size: 1024
    .name:           _ZN2at6native12_GLOBAL__N_125nll_loss2d_forward_kernelIddlEEvPT_S4_PKS3_PKlS6_iiil
    .private_segment_fixed_size: 0
    .sgpr_count:     32
    .sgpr_spill_count: 0
    .symbol:         _ZN2at6native12_GLOBAL__N_125nll_loss2d_forward_kernelIddlEEvPT_S4_PKS3_PKlS6_iiil.kd
    .uniform_work_group_size: 1
    .uses_dynamic_stack: false
    .vgpr_count:     18
    .vgpr_spill_count: 0
    .wavefront_size: 32
  - .args:
      - .address_space:  global
        .offset:         0
        .size:           8
        .value_kind:     global_buffer
      - .address_space:  global
        .offset:         8
        .size:           8
        .value_kind:     global_buffer
      - .address_space:  global
        .offset:         16
        .size:           8
        .value_kind:     global_buffer
      - .address_space:  global
        .offset:         24
        .size:           8
        .value_kind:     global_buffer
      - .address_space:  global
        .offset:         32
        .size:           8
        .value_kind:     global_buffer
      - .offset:         40
        .size:           4
        .value_kind:     by_value
      - .offset:         44
        .size:           4
        .value_kind:     by_value
      - .offset:         48
        .size:           4
        .value_kind:     by_value
      - .offset:         56
        .size:           8
        .value_kind:     by_value
      - .offset:         64
        .size:           4
        .value_kind:     hidden_block_count_x
      - .offset:         68
        .size:           4
        .value_kind:     hidden_block_count_y
      - .offset:         72
        .size:           4
        .value_kind:     hidden_block_count_z
      - .offset:         76
        .size:           2
        .value_kind:     hidden_group_size_x
      - .offset:         78
        .size:           2
        .value_kind:     hidden_group_size_y
      - .offset:         80
        .size:           2
        .value_kind:     hidden_group_size_z
      - .offset:         82
        .size:           2
        .value_kind:     hidden_remainder_x
      - .offset:         84
        .size:           2
        .value_kind:     hidden_remainder_y
      - .offset:         86
        .size:           2
        .value_kind:     hidden_remainder_z
      - .offset:         104
        .size:           8
        .value_kind:     hidden_global_offset_x
      - .offset:         112
        .size:           8
        .value_kind:     hidden_global_offset_y
      - .offset:         120
        .size:           8
        .value_kind:     hidden_global_offset_z
      - .offset:         128
        .size:           2
        .value_kind:     hidden_grid_dims
    .group_segment_fixed_size: 8192
    .kernarg_segment_align: 8
    .kernarg_segment_size: 320
    .language:       OpenCL C
    .language_version:
      - 2
      - 0
    .max_flat_workgroup_size: 1024
    .name:           _ZN2at6native12_GLOBAL__N_125nll_loss2d_forward_kernelIffiEEvPT_S4_PKS3_PKlS6_iiil
    .private_segment_fixed_size: 0
    .sgpr_count:     30
    .sgpr_spill_count: 0
    .symbol:         _ZN2at6native12_GLOBAL__N_125nll_loss2d_forward_kernelIffiEEvPT_S4_PKS3_PKlS6_iiil.kd
    .uniform_work_group_size: 1
    .uses_dynamic_stack: false
    .vgpr_count:     11
    .vgpr_spill_count: 0
    .wavefront_size: 32
  - .args:
      - .address_space:  global
        .offset:         0
        .size:           8
        .value_kind:     global_buffer
      - .address_space:  global
        .offset:         8
        .size:           8
        .value_kind:     global_buffer
    .group_segment_fixed_size: 0
    .kernarg_segment_align: 8
    .kernarg_segment_size: 16
    .language:       OpenCL C
    .language_version:
      - 2
      - 0
    .max_flat_workgroup_size: 1024
    .name:           _ZN2at6native12_GLOBAL__N_138nll_loss2d_forward_size_average_kernelIfEEvPT_PKS3_
    .private_segment_fixed_size: 0
    .sgpr_count:     8
    .sgpr_spill_count: 0
    .symbol:         _ZN2at6native12_GLOBAL__N_138nll_loss2d_forward_size_average_kernelIfEEvPT_PKS3_.kd
    .uniform_work_group_size: 1
    .uses_dynamic_stack: false
    .vgpr_count:     5
    .vgpr_spill_count: 0
    .wavefront_size: 32
  - .args:
      - .address_space:  global
        .offset:         0
        .size:           8
        .value_kind:     global_buffer
      - .address_space:  global
        .offset:         8
        .size:           8
        .value_kind:     global_buffer
      - .address_space:  global
        .offset:         16
        .size:           8
        .value_kind:     global_buffer
      - .address_space:  global
        .offset:         24
        .size:           8
        .value_kind:     global_buffer
      - .address_space:  global
        .offset:         32
        .size:           8
        .value_kind:     global_buffer
      - .offset:         40
        .size:           4
        .value_kind:     by_value
      - .offset:         44
        .size:           4
        .value_kind:     by_value
      - .offset:         48
        .size:           4
        .value_kind:     by_value
      - .offset:         56
        .size:           8
        .value_kind:     by_value
      - .offset:         64
        .size:           4
        .value_kind:     hidden_block_count_x
      - .offset:         68
        .size:           4
        .value_kind:     hidden_block_count_y
      - .offset:         72
        .size:           4
        .value_kind:     hidden_block_count_z
      - .offset:         76
        .size:           2
        .value_kind:     hidden_group_size_x
      - .offset:         78
        .size:           2
        .value_kind:     hidden_group_size_y
      - .offset:         80
        .size:           2
        .value_kind:     hidden_group_size_z
      - .offset:         82
        .size:           2
        .value_kind:     hidden_remainder_x
      - .offset:         84
        .size:           2
        .value_kind:     hidden_remainder_y
      - .offset:         86
        .size:           2
        .value_kind:     hidden_remainder_z
      - .offset:         104
        .size:           8
        .value_kind:     hidden_global_offset_x
      - .offset:         112
        .size:           8
        .value_kind:     hidden_global_offset_y
      - .offset:         120
        .size:           8
        .value_kind:     hidden_global_offset_z
      - .offset:         128
        .size:           2
        .value_kind:     hidden_grid_dims
    .group_segment_fixed_size: 8192
    .kernarg_segment_align: 8
    .kernarg_segment_size: 320
    .language:       OpenCL C
    .language_version:
      - 2
      - 0
    .max_flat_workgroup_size: 1024
    .name:           _ZN2at6native12_GLOBAL__N_125nll_loss2d_forward_kernelIfflEEvPT_S4_PKS3_PKlS6_iiil
    .private_segment_fixed_size: 0
    .sgpr_count:     32
    .sgpr_spill_count: 0
    .symbol:         _ZN2at6native12_GLOBAL__N_125nll_loss2d_forward_kernelIfflEEvPT_S4_PKS3_PKlS6_iiil.kd
    .uniform_work_group_size: 1
    .uses_dynamic_stack: false
    .vgpr_count:     13
    .vgpr_spill_count: 0
    .wavefront_size: 32
  - .args:
      - .address_space:  global
        .offset:         0
        .size:           8
        .value_kind:     global_buffer
      - .address_space:  global
        .offset:         8
        .size:           8
        .value_kind:     global_buffer
      - .address_space:  global
        .offset:         16
        .size:           8
        .value_kind:     global_buffer
      - .address_space:  global
        .offset:         24
        .size:           8
        .value_kind:     global_buffer
      - .address_space:  global
        .offset:         32
        .size:           8
        .value_kind:     global_buffer
      - .offset:         40
        .size:           4
        .value_kind:     by_value
      - .offset:         44
        .size:           4
        .value_kind:     by_value
      - .offset:         48
        .size:           4
        .value_kind:     by_value
      - .offset:         56
        .size:           8
        .value_kind:     by_value
      - .offset:         64
        .size:           4
        .value_kind:     hidden_block_count_x
      - .offset:         68
        .size:           4
        .value_kind:     hidden_block_count_y
      - .offset:         72
        .size:           4
        .value_kind:     hidden_block_count_z
      - .offset:         76
        .size:           2
        .value_kind:     hidden_group_size_x
      - .offset:         78
        .size:           2
        .value_kind:     hidden_group_size_y
      - .offset:         80
        .size:           2
        .value_kind:     hidden_group_size_z
      - .offset:         82
        .size:           2
        .value_kind:     hidden_remainder_x
      - .offset:         84
        .size:           2
        .value_kind:     hidden_remainder_y
      - .offset:         86
        .size:           2
        .value_kind:     hidden_remainder_z
      - .offset:         104
        .size:           8
        .value_kind:     hidden_global_offset_x
      - .offset:         112
        .size:           8
        .value_kind:     hidden_global_offset_y
      - .offset:         120
        .size:           8
        .value_kind:     hidden_global_offset_z
      - .offset:         128
        .size:           2
        .value_kind:     hidden_grid_dims
    .group_segment_fixed_size: 8192
    .kernarg_segment_align: 8
    .kernarg_segment_size: 320
    .language:       OpenCL C
    .language_version:
      - 2
      - 0
    .max_flat_workgroup_size: 1024
    .name:           _ZN2at6native12_GLOBAL__N_125nll_loss2d_forward_kernelIN3c104HalfEfiEEvPT_S6_PKS5_PKlS8_iiil
    .private_segment_fixed_size: 0
    .sgpr_count:     30
    .sgpr_spill_count: 0
    .symbol:         _ZN2at6native12_GLOBAL__N_125nll_loss2d_forward_kernelIN3c104HalfEfiEEvPT_S6_PKS5_PKlS8_iiil.kd
    .uniform_work_group_size: 1
    .uses_dynamic_stack: false
    .vgpr_count:     11
    .vgpr_spill_count: 0
    .wavefront_size: 32
  - .args:
      - .address_space:  global
        .offset:         0
        .size:           8
        .value_kind:     global_buffer
      - .address_space:  global
        .offset:         8
        .size:           8
        .value_kind:     global_buffer
    .group_segment_fixed_size: 0
    .kernarg_segment_align: 8
    .kernarg_segment_size: 16
    .language:       OpenCL C
    .language_version:
      - 2
      - 0
    .max_flat_workgroup_size: 1024
    .name:           _ZN2at6native12_GLOBAL__N_138nll_loss2d_forward_size_average_kernelIN3c104HalfEEEvPT_PKS5_
    .private_segment_fixed_size: 0
    .sgpr_count:     4
    .sgpr_spill_count: 0
    .symbol:         _ZN2at6native12_GLOBAL__N_138nll_loss2d_forward_size_average_kernelIN3c104HalfEEEvPT_PKS5_.kd
    .uniform_work_group_size: 1
    .uses_dynamic_stack: false
    .vgpr_count:     6
    .vgpr_spill_count: 0
    .wavefront_size: 32
  - .args:
      - .address_space:  global
        .offset:         0
        .size:           8
        .value_kind:     global_buffer
      - .address_space:  global
        .offset:         8
        .size:           8
        .value_kind:     global_buffer
      - .address_space:  global
        .offset:         16
        .size:           8
        .value_kind:     global_buffer
      - .address_space:  global
        .offset:         24
        .size:           8
        .value_kind:     global_buffer
      - .address_space:  global
        .offset:         32
        .size:           8
        .value_kind:     global_buffer
      - .offset:         40
        .size:           4
        .value_kind:     by_value
      - .offset:         44
        .size:           4
        .value_kind:     by_value
      - .offset:         48
        .size:           4
        .value_kind:     by_value
      - .offset:         56
        .size:           8
        .value_kind:     by_value
      - .offset:         64
        .size:           4
        .value_kind:     hidden_block_count_x
      - .offset:         68
        .size:           4
        .value_kind:     hidden_block_count_y
      - .offset:         72
        .size:           4
        .value_kind:     hidden_block_count_z
      - .offset:         76
        .size:           2
        .value_kind:     hidden_group_size_x
      - .offset:         78
        .size:           2
        .value_kind:     hidden_group_size_y
      - .offset:         80
        .size:           2
        .value_kind:     hidden_group_size_z
      - .offset:         82
        .size:           2
        .value_kind:     hidden_remainder_x
      - .offset:         84
        .size:           2
        .value_kind:     hidden_remainder_y
      - .offset:         86
        .size:           2
        .value_kind:     hidden_remainder_z
      - .offset:         104
        .size:           8
        .value_kind:     hidden_global_offset_x
      - .offset:         112
        .size:           8
        .value_kind:     hidden_global_offset_y
      - .offset:         120
        .size:           8
        .value_kind:     hidden_global_offset_z
      - .offset:         128
        .size:           2
        .value_kind:     hidden_grid_dims
    .group_segment_fixed_size: 8192
    .kernarg_segment_align: 8
    .kernarg_segment_size: 320
    .language:       OpenCL C
    .language_version:
      - 2
      - 0
    .max_flat_workgroup_size: 1024
    .name:           _ZN2at6native12_GLOBAL__N_125nll_loss2d_forward_kernelIN3c104HalfEflEEvPT_S6_PKS5_PKlS8_iiil
    .private_segment_fixed_size: 0
    .sgpr_count:     32
    .sgpr_spill_count: 0
    .symbol:         _ZN2at6native12_GLOBAL__N_125nll_loss2d_forward_kernelIN3c104HalfEflEEvPT_S6_PKS5_PKlS8_iiil.kd
    .uniform_work_group_size: 1
    .uses_dynamic_stack: false
    .vgpr_count:     13
    .vgpr_spill_count: 0
    .wavefront_size: 32
  - .args:
      - .address_space:  global
        .offset:         0
        .size:           8
        .value_kind:     global_buffer
      - .address_space:  global
        .offset:         8
        .size:           8
        .value_kind:     global_buffer
      - .address_space:  global
        .offset:         16
        .size:           8
        .value_kind:     global_buffer
      - .address_space:  global
        .offset:         24
        .size:           8
        .value_kind:     global_buffer
      - .address_space:  global
        .offset:         32
        .size:           8
        .value_kind:     global_buffer
      - .offset:         40
        .size:           4
        .value_kind:     by_value
      - .offset:         44
        .size:           4
        .value_kind:     by_value
      - .offset:         48
        .size:           4
        .value_kind:     by_value
      - .offset:         56
        .size:           8
        .value_kind:     by_value
      - .offset:         64
        .size:           4
        .value_kind:     hidden_block_count_x
      - .offset:         68
        .size:           4
        .value_kind:     hidden_block_count_y
      - .offset:         72
        .size:           4
        .value_kind:     hidden_block_count_z
      - .offset:         76
        .size:           2
        .value_kind:     hidden_group_size_x
      - .offset:         78
        .size:           2
        .value_kind:     hidden_group_size_y
      - .offset:         80
        .size:           2
        .value_kind:     hidden_group_size_z
      - .offset:         82
        .size:           2
        .value_kind:     hidden_remainder_x
      - .offset:         84
        .size:           2
        .value_kind:     hidden_remainder_y
      - .offset:         86
        .size:           2
        .value_kind:     hidden_remainder_z
      - .offset:         104
        .size:           8
        .value_kind:     hidden_global_offset_x
      - .offset:         112
        .size:           8
        .value_kind:     hidden_global_offset_y
      - .offset:         120
        .size:           8
        .value_kind:     hidden_global_offset_z
      - .offset:         128
        .size:           2
        .value_kind:     hidden_grid_dims
    .group_segment_fixed_size: 8192
    .kernarg_segment_align: 8
    .kernarg_segment_size: 320
    .language:       OpenCL C
    .language_version:
      - 2
      - 0
    .max_flat_workgroup_size: 1024
    .name:           _ZN2at6native12_GLOBAL__N_125nll_loss2d_forward_kernelIN3c108BFloat16EfiEEvPT_S6_PKS5_PKlS8_iiil
    .private_segment_fixed_size: 0
    .sgpr_count:     30
    .sgpr_spill_count: 0
    .symbol:         _ZN2at6native12_GLOBAL__N_125nll_loss2d_forward_kernelIN3c108BFloat16EfiEEvPT_S6_PKS5_PKlS8_iiil.kd
    .uniform_work_group_size: 1
    .uses_dynamic_stack: false
    .vgpr_count:     11
    .vgpr_spill_count: 0
    .wavefront_size: 32
  - .args:
      - .address_space:  global
        .offset:         0
        .size:           8
        .value_kind:     global_buffer
      - .address_space:  global
        .offset:         8
        .size:           8
        .value_kind:     global_buffer
    .group_segment_fixed_size: 0
    .kernarg_segment_align: 8
    .kernarg_segment_size: 16
    .language:       OpenCL C
    .language_version:
      - 2
      - 0
    .max_flat_workgroup_size: 1024
    .name:           _ZN2at6native12_GLOBAL__N_138nll_loss2d_forward_size_average_kernelIN3c108BFloat16EEEvPT_PKS5_
    .private_segment_fixed_size: 0
    .sgpr_count:     8
    .sgpr_spill_count: 0
    .symbol:         _ZN2at6native12_GLOBAL__N_138nll_loss2d_forward_size_average_kernelIN3c108BFloat16EEEvPT_PKS5_.kd
    .uniform_work_group_size: 1
    .uses_dynamic_stack: false
    .vgpr_count:     5
    .vgpr_spill_count: 0
    .wavefront_size: 32
  - .args:
      - .address_space:  global
        .offset:         0
        .size:           8
        .value_kind:     global_buffer
      - .address_space:  global
        .offset:         8
        .size:           8
        .value_kind:     global_buffer
      - .address_space:  global
        .offset:         16
        .size:           8
        .value_kind:     global_buffer
      - .address_space:  global
        .offset:         24
        .size:           8
        .value_kind:     global_buffer
      - .address_space:  global
        .offset:         32
        .size:           8
        .value_kind:     global_buffer
      - .offset:         40
        .size:           4
        .value_kind:     by_value
      - .offset:         44
        .size:           4
        .value_kind:     by_value
      - .offset:         48
        .size:           4
        .value_kind:     by_value
      - .offset:         56
        .size:           8
        .value_kind:     by_value
      - .offset:         64
        .size:           4
        .value_kind:     hidden_block_count_x
      - .offset:         68
        .size:           4
        .value_kind:     hidden_block_count_y
      - .offset:         72
        .size:           4
        .value_kind:     hidden_block_count_z
      - .offset:         76
        .size:           2
        .value_kind:     hidden_group_size_x
      - .offset:         78
        .size:           2
        .value_kind:     hidden_group_size_y
      - .offset:         80
        .size:           2
        .value_kind:     hidden_group_size_z
      - .offset:         82
        .size:           2
        .value_kind:     hidden_remainder_x
      - .offset:         84
        .size:           2
        .value_kind:     hidden_remainder_y
      - .offset:         86
        .size:           2
        .value_kind:     hidden_remainder_z
      - .offset:         104
        .size:           8
        .value_kind:     hidden_global_offset_x
      - .offset:         112
        .size:           8
        .value_kind:     hidden_global_offset_y
      - .offset:         120
        .size:           8
        .value_kind:     hidden_global_offset_z
      - .offset:         128
        .size:           2
        .value_kind:     hidden_grid_dims
    .group_segment_fixed_size: 8192
    .kernarg_segment_align: 8
    .kernarg_segment_size: 320
    .language:       OpenCL C
    .language_version:
      - 2
      - 0
    .max_flat_workgroup_size: 1024
    .name:           _ZN2at6native12_GLOBAL__N_125nll_loss2d_forward_kernelIN3c108BFloat16EflEEvPT_S6_PKS5_PKlS8_iiil
    .private_segment_fixed_size: 0
    .sgpr_count:     32
    .sgpr_spill_count: 0
    .symbol:         _ZN2at6native12_GLOBAL__N_125nll_loss2d_forward_kernelIN3c108BFloat16EflEEvPT_S6_PKS5_PKlS8_iiil.kd
    .uniform_work_group_size: 1
    .uses_dynamic_stack: false
    .vgpr_count:     13
    .vgpr_spill_count: 0
    .wavefront_size: 32
  - .args:
      - .offset:         0
        .size:           8
        .value_kind:     by_value
      - .offset:         8
        .size:           56
        .value_kind:     by_value
      - .offset:         64
        .size:           56
        .value_kind:     by_value
      - .offset:         120
        .size:           72
        .value_kind:     by_value
      - .address_space:  global
        .offset:         192
        .size:           8
        .value_kind:     global_buffer
      - .offset:         200
        .size:           8
        .value_kind:     by_value
      - .offset:         208
        .size:           4
        .value_kind:     hidden_block_count_x
      - .offset:         212
        .size:           4
        .value_kind:     hidden_block_count_y
      - .offset:         216
        .size:           4
        .value_kind:     hidden_block_count_z
      - .offset:         220
        .size:           2
        .value_kind:     hidden_group_size_x
      - .offset:         222
        .size:           2
        .value_kind:     hidden_group_size_y
      - .offset:         224
        .size:           2
        .value_kind:     hidden_group_size_z
      - .offset:         226
        .size:           2
        .value_kind:     hidden_remainder_x
      - .offset:         228
        .size:           2
        .value_kind:     hidden_remainder_y
      - .offset:         230
        .size:           2
        .value_kind:     hidden_remainder_z
      - .offset:         248
        .size:           8
        .value_kind:     hidden_global_offset_x
      - .offset:         256
        .size:           8
        .value_kind:     hidden_global_offset_y
      - .offset:         264
        .size:           8
        .value_kind:     hidden_global_offset_z
      - .offset:         272
        .size:           2
        .value_kind:     hidden_grid_dims
    .group_segment_fixed_size: 0
    .kernarg_segment_align: 8
    .kernarg_segment_size: 464
    .language:       OpenCL C
    .language_version:
      - 2
      - 0
    .max_flat_workgroup_size: 1024
    .name:           _ZN2at6native12_GLOBAL__N_136nll_loss2d_backward_no_reduce_kernelIdEEvlN5torch10headeronly6detail27GenericPackedTensorAccessorINS5_14TensorAccessorIN3c108ArrayRefIlEElLm2ENS4_16DefaultPtrTraitsElEENS_6detail16IndexBoundsCheckILm3ElEElLm3ESB_lEENS6_INS7_ISA_T_Lm2ESB_lEESF_SH_Lm3ESB_lEENS6_INS7_ISA_SH_Lm3ESB_lEENSE_ILm4ElEESH_Lm4ESB_lEEPKSH_l
    .private_segment_fixed_size: 0
    .sgpr_count:     73
    .sgpr_spill_count: 0
    .symbol:         _ZN2at6native12_GLOBAL__N_136nll_loss2d_backward_no_reduce_kernelIdEEvlN5torch10headeronly6detail27GenericPackedTensorAccessorINS5_14TensorAccessorIN3c108ArrayRefIlEElLm2ENS4_16DefaultPtrTraitsElEENS_6detail16IndexBoundsCheckILm3ElEElLm3ESB_lEENS6_INS7_ISA_T_Lm2ESB_lEESF_SH_Lm3ESB_lEENS6_INS7_ISA_SH_Lm3ESB_lEENSE_ILm4ElEESH_Lm4ESB_lEEPKSH_l.kd
    .uniform_work_group_size: 1
    .uses_dynamic_stack: false
    .vgpr_count:     28
    .vgpr_spill_count: 0
    .wavefront_size: 32
  - .args:
      - .offset:         0
        .size:           8
        .value_kind:     by_value
      - .offset:         8
        .size:           56
        .value_kind:     by_value
      - .offset:         64
        .size:           56
        .value_kind:     by_value
      - .offset:         120
        .size:           72
        .value_kind:     by_value
      - .address_space:  global
        .offset:         192
        .size:           8
        .value_kind:     global_buffer
      - .offset:         200
        .size:           8
        .value_kind:     by_value
      - .offset:         208
        .size:           4
        .value_kind:     hidden_block_count_x
      - .offset:         212
        .size:           4
        .value_kind:     hidden_block_count_y
      - .offset:         216
        .size:           4
        .value_kind:     hidden_block_count_z
      - .offset:         220
        .size:           2
        .value_kind:     hidden_group_size_x
      - .offset:         222
        .size:           2
        .value_kind:     hidden_group_size_y
      - .offset:         224
        .size:           2
        .value_kind:     hidden_group_size_z
      - .offset:         226
        .size:           2
        .value_kind:     hidden_remainder_x
      - .offset:         228
        .size:           2
        .value_kind:     hidden_remainder_y
      - .offset:         230
        .size:           2
        .value_kind:     hidden_remainder_z
      - .offset:         248
        .size:           8
        .value_kind:     hidden_global_offset_x
      - .offset:         256
        .size:           8
        .value_kind:     hidden_global_offset_y
      - .offset:         264
        .size:           8
        .value_kind:     hidden_global_offset_z
      - .offset:         272
        .size:           2
        .value_kind:     hidden_grid_dims
    .group_segment_fixed_size: 0
    .kernarg_segment_align: 8
    .kernarg_segment_size: 464
    .language:       OpenCL C
    .language_version:
      - 2
      - 0
    .max_flat_workgroup_size: 1024
    .name:           _ZN2at6native12_GLOBAL__N_136nll_loss2d_backward_no_reduce_kernelIfEEvlN5torch10headeronly6detail27GenericPackedTensorAccessorINS5_14TensorAccessorIN3c108ArrayRefIlEElLm2ENS4_16DefaultPtrTraitsElEENS_6detail16IndexBoundsCheckILm3ElEElLm3ESB_lEENS6_INS7_ISA_T_Lm2ESB_lEESF_SH_Lm3ESB_lEENS6_INS7_ISA_SH_Lm3ESB_lEENSE_ILm4ElEESH_Lm4ESB_lEEPKSH_l
    .private_segment_fixed_size: 0
    .sgpr_count:     73
    .sgpr_spill_count: 0
    .symbol:         _ZN2at6native12_GLOBAL__N_136nll_loss2d_backward_no_reduce_kernelIfEEvlN5torch10headeronly6detail27GenericPackedTensorAccessorINS5_14TensorAccessorIN3c108ArrayRefIlEElLm2ENS4_16DefaultPtrTraitsElEENS_6detail16IndexBoundsCheckILm3ElEElLm3ESB_lEENS6_INS7_ISA_T_Lm2ESB_lEESF_SH_Lm3ESB_lEENS6_INS7_ISA_SH_Lm3ESB_lEENSE_ILm4ElEESH_Lm4ESB_lEEPKSH_l.kd
    .uniform_work_group_size: 1
    .uses_dynamic_stack: false
    .vgpr_count:     28
    .vgpr_spill_count: 0
    .wavefront_size: 32
  - .args:
      - .offset:         0
        .size:           8
        .value_kind:     by_value
      - .offset:         8
        .size:           56
        .value_kind:     by_value
      - .offset:         64
        .size:           56
        .value_kind:     by_value
      - .offset:         120
        .size:           72
        .value_kind:     by_value
      - .address_space:  global
        .offset:         192
        .size:           8
        .value_kind:     global_buffer
      - .offset:         200
        .size:           8
        .value_kind:     by_value
      - .offset:         208
        .size:           4
        .value_kind:     hidden_block_count_x
      - .offset:         212
        .size:           4
        .value_kind:     hidden_block_count_y
      - .offset:         216
        .size:           4
        .value_kind:     hidden_block_count_z
      - .offset:         220
        .size:           2
        .value_kind:     hidden_group_size_x
      - .offset:         222
        .size:           2
        .value_kind:     hidden_group_size_y
      - .offset:         224
        .size:           2
        .value_kind:     hidden_group_size_z
      - .offset:         226
        .size:           2
        .value_kind:     hidden_remainder_x
      - .offset:         228
        .size:           2
        .value_kind:     hidden_remainder_y
      - .offset:         230
        .size:           2
        .value_kind:     hidden_remainder_z
      - .offset:         248
        .size:           8
        .value_kind:     hidden_global_offset_x
      - .offset:         256
        .size:           8
        .value_kind:     hidden_global_offset_y
      - .offset:         264
        .size:           8
        .value_kind:     hidden_global_offset_z
      - .offset:         272
        .size:           2
        .value_kind:     hidden_grid_dims
    .group_segment_fixed_size: 0
    .kernarg_segment_align: 8
    .kernarg_segment_size: 464
    .language:       OpenCL C
    .language_version:
      - 2
      - 0
    .max_flat_workgroup_size: 1024
    .name:           _ZN2at6native12_GLOBAL__N_136nll_loss2d_backward_no_reduce_kernelIN3c104HalfEEEvlN5torch10headeronly6detail27GenericPackedTensorAccessorINS7_14TensorAccessorINS3_8ArrayRefIlEElLm2ENS6_16DefaultPtrTraitsElEENS_6detail16IndexBoundsCheckILm3ElEElLm3ESC_lEENS8_INS9_ISB_T_Lm2ESC_lEESG_SI_Lm3ESC_lEENS8_INS9_ISB_SI_Lm3ESC_lEENSF_ILm4ElEESI_Lm4ESC_lEEPKSI_l
    .private_segment_fixed_size: 0
    .sgpr_count:     73
    .sgpr_spill_count: 0
    .symbol:         _ZN2at6native12_GLOBAL__N_136nll_loss2d_backward_no_reduce_kernelIN3c104HalfEEEvlN5torch10headeronly6detail27GenericPackedTensorAccessorINS7_14TensorAccessorINS3_8ArrayRefIlEElLm2ENS6_16DefaultPtrTraitsElEENS_6detail16IndexBoundsCheckILm3ElEElLm3ESC_lEENS8_INS9_ISB_T_Lm2ESC_lEESG_SI_Lm3ESC_lEENS8_INS9_ISB_SI_Lm3ESC_lEENSF_ILm4ElEESI_Lm4ESC_lEEPKSI_l.kd
    .uniform_work_group_size: 1
    .uses_dynamic_stack: false
    .vgpr_count:     28
    .vgpr_spill_count: 0
    .wavefront_size: 32
  - .args:
      - .offset:         0
        .size:           8
        .value_kind:     by_value
      - .offset:         8
        .size:           56
        .value_kind:     by_value
      - .offset:         64
        .size:           56
        .value_kind:     by_value
      - .offset:         120
        .size:           72
        .value_kind:     by_value
      - .address_space:  global
        .offset:         192
        .size:           8
        .value_kind:     global_buffer
      - .offset:         200
        .size:           8
        .value_kind:     by_value
      - .offset:         208
        .size:           4
        .value_kind:     hidden_block_count_x
      - .offset:         212
        .size:           4
        .value_kind:     hidden_block_count_y
      - .offset:         216
        .size:           4
        .value_kind:     hidden_block_count_z
      - .offset:         220
        .size:           2
        .value_kind:     hidden_group_size_x
      - .offset:         222
        .size:           2
        .value_kind:     hidden_group_size_y
      - .offset:         224
        .size:           2
        .value_kind:     hidden_group_size_z
      - .offset:         226
        .size:           2
        .value_kind:     hidden_remainder_x
      - .offset:         228
        .size:           2
        .value_kind:     hidden_remainder_y
      - .offset:         230
        .size:           2
        .value_kind:     hidden_remainder_z
      - .offset:         248
        .size:           8
        .value_kind:     hidden_global_offset_x
      - .offset:         256
        .size:           8
        .value_kind:     hidden_global_offset_y
      - .offset:         264
        .size:           8
        .value_kind:     hidden_global_offset_z
      - .offset:         272
        .size:           2
        .value_kind:     hidden_grid_dims
    .group_segment_fixed_size: 0
    .kernarg_segment_align: 8
    .kernarg_segment_size: 464
    .language:       OpenCL C
    .language_version:
      - 2
      - 0
    .max_flat_workgroup_size: 1024
    .name:           _ZN2at6native12_GLOBAL__N_136nll_loss2d_backward_no_reduce_kernelIN3c108BFloat16EEEvlN5torch10headeronly6detail27GenericPackedTensorAccessorINS7_14TensorAccessorINS3_8ArrayRefIlEElLm2ENS6_16DefaultPtrTraitsElEENS_6detail16IndexBoundsCheckILm3ElEElLm3ESC_lEENS8_INS9_ISB_T_Lm2ESC_lEESG_SI_Lm3ESC_lEENS8_INS9_ISB_SI_Lm3ESC_lEENSF_ILm4ElEESI_Lm4ESC_lEEPKSI_l
    .private_segment_fixed_size: 0
    .sgpr_count:     73
    .sgpr_spill_count: 0
    .symbol:         _ZN2at6native12_GLOBAL__N_136nll_loss2d_backward_no_reduce_kernelIN3c108BFloat16EEEvlN5torch10headeronly6detail27GenericPackedTensorAccessorINS7_14TensorAccessorINS3_8ArrayRefIlEElLm2ENS6_16DefaultPtrTraitsElEENS_6detail16IndexBoundsCheckILm3ElEElLm3ESC_lEENS8_INS9_ISB_T_Lm2ESC_lEESG_SI_Lm3ESC_lEENS8_INS9_ISB_SI_Lm3ESC_lEENSF_ILm4ElEESI_Lm4ESC_lEEPKSI_l.kd
    .uniform_work_group_size: 1
    .uses_dynamic_stack: false
    .vgpr_count:     28
    .vgpr_spill_count: 0
    .wavefront_size: 32
  - .args:
      - .address_space:  global
        .offset:         0
        .size:           8
        .value_kind:     global_buffer
      - .address_space:  global
        .offset:         8
        .size:           8
        .value_kind:     global_buffer
      - .address_space:  global
        .offset:         16
        .size:           8
        .value_kind:     global_buffer
      - .address_space:  global
        .offset:         24
        .size:           8
        .value_kind:     global_buffer
      - .address_space:  global
        .offset:         32
        .size:           8
        .value_kind:     global_buffer
      - .offset:         40
        .size:           1
        .value_kind:     by_value
      - .offset:         44
        .size:           4
        .value_kind:     by_value
      - .offset:         48
        .size:           4
        .value_kind:     by_value
      - .offset:         52
        .size:           4
        .value_kind:     by_value
      - .offset:         56
        .size:           8
        .value_kind:     by_value
      - .offset:         64
        .size:           4
        .value_kind:     hidden_block_count_x
      - .offset:         68
        .size:           4
        .value_kind:     hidden_block_count_y
      - .offset:         72
        .size:           4
        .value_kind:     hidden_block_count_z
      - .offset:         76
        .size:           2
        .value_kind:     hidden_group_size_x
      - .offset:         78
        .size:           2
        .value_kind:     hidden_group_size_y
      - .offset:         80
        .size:           2
        .value_kind:     hidden_group_size_z
      - .offset:         82
        .size:           2
        .value_kind:     hidden_remainder_x
      - .offset:         84
        .size:           2
        .value_kind:     hidden_remainder_y
      - .offset:         86
        .size:           2
        .value_kind:     hidden_remainder_z
      - .offset:         104
        .size:           8
        .value_kind:     hidden_global_offset_x
      - .offset:         112
        .size:           8
        .value_kind:     hidden_global_offset_y
      - .offset:         120
        .size:           8
        .value_kind:     hidden_global_offset_z
      - .offset:         128
        .size:           2
        .value_kind:     hidden_grid_dims
    .group_segment_fixed_size: 0
    .kernarg_segment_align: 8
    .kernarg_segment_size: 320
    .language:       OpenCL C
    .language_version:
      - 2
      - 0
    .max_flat_workgroup_size: 1024
    .name:           _ZN2at6native12_GLOBAL__N_126nll_loss2d_backward_kernelIdEEvPT_PKS3_PKlS6_S6_biiil
    .private_segment_fixed_size: 0
    .sgpr_count:     29
    .sgpr_spill_count: 0
    .symbol:         _ZN2at6native12_GLOBAL__N_126nll_loss2d_backward_kernelIdEEvPT_PKS3_PKlS6_S6_biiil.kd
    .uniform_work_group_size: 1
    .uses_dynamic_stack: false
    .vgpr_count:     14
    .vgpr_spill_count: 0
    .wavefront_size: 32
  - .args:
      - .address_space:  global
        .offset:         0
        .size:           8
        .value_kind:     global_buffer
      - .address_space:  global
        .offset:         8
        .size:           8
        .value_kind:     global_buffer
      - .address_space:  global
        .offset:         16
        .size:           8
        .value_kind:     global_buffer
      - .address_space:  global
        .offset:         24
        .size:           8
        .value_kind:     global_buffer
      - .address_space:  global
        .offset:         32
        .size:           8
        .value_kind:     global_buffer
      - .offset:         40
        .size:           1
        .value_kind:     by_value
      - .offset:         44
        .size:           4
        .value_kind:     by_value
      - .offset:         48
        .size:           4
        .value_kind:     by_value
      - .offset:         52
        .size:           4
        .value_kind:     by_value
      - .offset:         56
        .size:           8
        .value_kind:     by_value
      - .offset:         64
        .size:           4
        .value_kind:     hidden_block_count_x
      - .offset:         68
        .size:           4
        .value_kind:     hidden_block_count_y
      - .offset:         72
        .size:           4
        .value_kind:     hidden_block_count_z
      - .offset:         76
        .size:           2
        .value_kind:     hidden_group_size_x
      - .offset:         78
        .size:           2
        .value_kind:     hidden_group_size_y
      - .offset:         80
        .size:           2
        .value_kind:     hidden_group_size_z
      - .offset:         82
        .size:           2
        .value_kind:     hidden_remainder_x
      - .offset:         84
        .size:           2
        .value_kind:     hidden_remainder_y
      - .offset:         86
        .size:           2
        .value_kind:     hidden_remainder_z
      - .offset:         104
        .size:           8
        .value_kind:     hidden_global_offset_x
      - .offset:         112
        .size:           8
        .value_kind:     hidden_global_offset_y
      - .offset:         120
        .size:           8
        .value_kind:     hidden_global_offset_z
      - .offset:         128
        .size:           2
        .value_kind:     hidden_grid_dims
    .group_segment_fixed_size: 0
    .kernarg_segment_align: 8
    .kernarg_segment_size: 320
    .language:       OpenCL C
    .language_version:
      - 2
      - 0
    .max_flat_workgroup_size: 1024
    .name:           _ZN2at6native12_GLOBAL__N_126nll_loss2d_backward_kernelIfEEvPT_PKS3_PKlS6_S6_biiil
    .private_segment_fixed_size: 0
    .sgpr_count:     29
    .sgpr_spill_count: 0
    .symbol:         _ZN2at6native12_GLOBAL__N_126nll_loss2d_backward_kernelIfEEvPT_PKS3_PKlS6_S6_biiil.kd
    .uniform_work_group_size: 1
    .uses_dynamic_stack: false
    .vgpr_count:     11
    .vgpr_spill_count: 0
    .wavefront_size: 32
  - .args:
      - .address_space:  global
        .offset:         0
        .size:           8
        .value_kind:     global_buffer
      - .address_space:  global
        .offset:         8
        .size:           8
        .value_kind:     global_buffer
      - .address_space:  global
        .offset:         16
        .size:           8
        .value_kind:     global_buffer
      - .address_space:  global
        .offset:         24
        .size:           8
        .value_kind:     global_buffer
      - .address_space:  global
        .offset:         32
        .size:           8
        .value_kind:     global_buffer
      - .offset:         40
        .size:           1
        .value_kind:     by_value
      - .offset:         44
        .size:           4
        .value_kind:     by_value
      - .offset:         48
        .size:           4
        .value_kind:     by_value
      - .offset:         52
        .size:           4
        .value_kind:     by_value
      - .offset:         56
        .size:           8
        .value_kind:     by_value
      - .offset:         64
        .size:           4
        .value_kind:     hidden_block_count_x
      - .offset:         68
        .size:           4
        .value_kind:     hidden_block_count_y
      - .offset:         72
        .size:           4
        .value_kind:     hidden_block_count_z
      - .offset:         76
        .size:           2
        .value_kind:     hidden_group_size_x
      - .offset:         78
        .size:           2
        .value_kind:     hidden_group_size_y
      - .offset:         80
        .size:           2
        .value_kind:     hidden_group_size_z
      - .offset:         82
        .size:           2
        .value_kind:     hidden_remainder_x
      - .offset:         84
        .size:           2
        .value_kind:     hidden_remainder_y
      - .offset:         86
        .size:           2
        .value_kind:     hidden_remainder_z
      - .offset:         104
        .size:           8
        .value_kind:     hidden_global_offset_x
      - .offset:         112
        .size:           8
        .value_kind:     hidden_global_offset_y
      - .offset:         120
        .size:           8
        .value_kind:     hidden_global_offset_z
      - .offset:         128
        .size:           2
        .value_kind:     hidden_grid_dims
    .group_segment_fixed_size: 0
    .kernarg_segment_align: 8
    .kernarg_segment_size: 320
    .language:       OpenCL C
    .language_version:
      - 2
      - 0
    .max_flat_workgroup_size: 1024
    .name:           _ZN2at6native12_GLOBAL__N_126nll_loss2d_backward_kernelIN3c104HalfEEEvPT_PKS5_PKlS8_S8_biiil
    .private_segment_fixed_size: 0
    .sgpr_count:     29
    .sgpr_spill_count: 0
    .symbol:         _ZN2at6native12_GLOBAL__N_126nll_loss2d_backward_kernelIN3c104HalfEEEvPT_PKS5_PKlS8_S8_biiil.kd
    .uniform_work_group_size: 1
    .uses_dynamic_stack: false
    .vgpr_count:     11
    .vgpr_spill_count: 0
    .wavefront_size: 32
  - .args:
      - .address_space:  global
        .offset:         0
        .size:           8
        .value_kind:     global_buffer
      - .address_space:  global
        .offset:         8
        .size:           8
        .value_kind:     global_buffer
      - .address_space:  global
        .offset:         16
        .size:           8
        .value_kind:     global_buffer
      - .address_space:  global
        .offset:         24
        .size:           8
        .value_kind:     global_buffer
      - .address_space:  global
        .offset:         32
        .size:           8
        .value_kind:     global_buffer
      - .offset:         40
        .size:           1
        .value_kind:     by_value
      - .offset:         44
        .size:           4
        .value_kind:     by_value
      - .offset:         48
        .size:           4
        .value_kind:     by_value
      - .offset:         52
        .size:           4
        .value_kind:     by_value
      - .offset:         56
        .size:           8
        .value_kind:     by_value
      - .offset:         64
        .size:           4
        .value_kind:     hidden_block_count_x
      - .offset:         68
        .size:           4
        .value_kind:     hidden_block_count_y
      - .offset:         72
        .size:           4
        .value_kind:     hidden_block_count_z
      - .offset:         76
        .size:           2
        .value_kind:     hidden_group_size_x
      - .offset:         78
        .size:           2
        .value_kind:     hidden_group_size_y
      - .offset:         80
        .size:           2
        .value_kind:     hidden_group_size_z
      - .offset:         82
        .size:           2
        .value_kind:     hidden_remainder_x
      - .offset:         84
        .size:           2
        .value_kind:     hidden_remainder_y
      - .offset:         86
        .size:           2
        .value_kind:     hidden_remainder_z
      - .offset:         104
        .size:           8
        .value_kind:     hidden_global_offset_x
      - .offset:         112
        .size:           8
        .value_kind:     hidden_global_offset_y
      - .offset:         120
        .size:           8
        .value_kind:     hidden_global_offset_z
      - .offset:         128
        .size:           2
        .value_kind:     hidden_grid_dims
    .group_segment_fixed_size: 0
    .kernarg_segment_align: 8
    .kernarg_segment_size: 320
    .language:       OpenCL C
    .language_version:
      - 2
      - 0
    .max_flat_workgroup_size: 1024
    .name:           _ZN2at6native12_GLOBAL__N_126nll_loss2d_backward_kernelIN3c108BFloat16EEEvPT_PKS5_PKlS8_S8_biiil
    .private_segment_fixed_size: 0
    .sgpr_count:     31
    .sgpr_spill_count: 0
    .symbol:         _ZN2at6native12_GLOBAL__N_126nll_loss2d_backward_kernelIN3c108BFloat16EEEvPT_PKS5_PKlS8_S8_biiil.kd
    .uniform_work_group_size: 1
    .uses_dynamic_stack: false
    .vgpr_count:     9
    .vgpr_spill_count: 0
    .wavefront_size: 32
amdhsa.target:   amdgcn-amd-amdhsa--gfx1250
amdhsa.version:
  - 1
  - 2
...

	.end_amdgpu_metadata
